;; amdgpu-corpus repo=ROCm/rocFFT kind=compiled arch=gfx906 opt=O3
	.text
	.amdgcn_target "amdgcn-amd-amdhsa--gfx906"
	.amdhsa_code_object_version 6
	.protected	bluestein_single_fwd_len546_dim1_half_op_CI_CI ; -- Begin function bluestein_single_fwd_len546_dim1_half_op_CI_CI
	.globl	bluestein_single_fwd_len546_dim1_half_op_CI_CI
	.p2align	8
	.type	bluestein_single_fwd_len546_dim1_half_op_CI_CI,@function
bluestein_single_fwd_len546_dim1_half_op_CI_CI: ; @bluestein_single_fwd_len546_dim1_half_op_CI_CI
; %bb.0:
	v_mul_u32_u24_e32 v1, 0x691, v0
	s_load_dwordx4 s[8:11], s[4:5], 0x28
	v_lshrrev_b32_e32 v1, 16, v1
	v_mad_u64_u32 v[6:7], s[0:1], s6, 3, v[1:2]
	v_mov_b32_e32 v7, 0
	s_waitcnt lgkmcnt(0)
	v_cmp_gt_u64_e32 vcc, s[8:9], v[6:7]
	s_and_saveexec_b64 s[0:1], vcc
	s_cbranch_execz .LBB0_23
; %bb.1:
	s_load_dwordx4 s[12:15], s[4:5], 0x18
	v_mul_lo_u16_e32 v1, 39, v1
	v_sub_u16_e32 v56, v0, v1
	v_lshlrev_b32_e32 v37, 2, v56
	s_waitcnt lgkmcnt(0)
	s_load_dwordx4 s[0:3], s[12:13], 0x0
	s_nop 0
	s_load_dwordx2 s[12:13], s[4:5], 0x0
	s_waitcnt lgkmcnt(0)
	v_mad_u64_u32 v[0:1], s[6:7], s2, v6, 0
	v_mad_u64_u32 v[2:3], s[6:7], s0, v56, 0
	global_load_dword v58, v37, s[12:13]
	v_mad_u64_u32 v[4:5], s[2:3], s3, v6, v[1:2]
	v_mov_b32_e32 v5, s11
	v_mad_u64_u32 v[7:8], s[2:3], s1, v56, v[3:4]
	v_mov_b32_e32 v1, v4
	v_lshlrev_b64 v[0:1], 2, v[0:1]
	v_mov_b32_e32 v3, v7
	v_add_co_u32_e32 v4, vcc, s10, v0
	v_addc_co_u32_e32 v5, vcc, v5, v1, vcc
	v_lshlrev_b64 v[0:1], 2, v[2:3]
	s_mov_b32 s2, 0xaaaaaaab
	v_add_co_u32_e32 v0, vcc, v4, v0
	v_addc_co_u32_e32 v1, vcc, v5, v1, vcc
	global_load_dword v2, v[0:1], off
	s_load_dwordx2 s[6:7], s[4:5], 0x38
	s_load_dwordx4 s[8:11], s[14:15], 0x0
	s_mul_i32 s3, s1, 42
	s_mul_hi_u32 s14, s0, 42
	v_mul_hi_u32 v3, v6, s2
	s_mul_i32 s2, s0, 42
	s_add_i32 s3, s14, s3
	s_lshl_b64 s[2:3], s[2:3], 2
	v_mov_b32_e32 v7, s3
	v_add_co_u32_e32 v0, vcc, s2, v0
	v_addc_co_u32_e32 v1, vcc, v1, v7, vcc
	global_load_dword v57, v37, s[12:13] offset:168
	global_load_dword v55, v37, s[12:13] offset:336
	global_load_dword v8, v[0:1], off
	v_add_co_u32_e32 v0, vcc, s2, v0
	v_addc_co_u32_e32 v1, vcc, v1, v7, vcc
	global_load_dword v9, v[0:1], off
	v_add_co_u32_e32 v0, vcc, s2, v0
	v_addc_co_u32_e32 v1, vcc, v1, v7, vcc
	global_load_dword v10, v[0:1], off
	global_load_dword v54, v37, s[12:13] offset:504
	global_load_dword v53, v37, s[12:13] offset:672
	;; [unrolled: 1-line block ×5, first 2 shown]
	v_add_co_u32_e32 v0, vcc, s2, v0
	v_addc_co_u32_e32 v1, vcc, v1, v7, vcc
	global_load_dword v11, v[0:1], off
	global_load_dword v49, v37, s[12:13] offset:1344
	global_load_dword v48, v37, s[12:13] offset:1512
	v_add_co_u32_e32 v0, vcc, s2, v0
	v_addc_co_u32_e32 v1, vcc, v1, v7, vcc
	global_load_dword v12, v[0:1], off
	v_add_co_u32_e32 v0, vcc, s2, v0
	v_addc_co_u32_e32 v1, vcc, v1, v7, vcc
	global_load_dword v13, v[0:1], off
	v_add_co_u32_e32 v0, vcc, s2, v0
	v_addc_co_u32_e32 v1, vcc, v1, v7, vcc
	v_mov_b32_e32 v5, s13
	global_load_dword v14, v[0:1], off
	v_add_co_u32_e32 v4, vcc, s12, v37
	v_addc_co_u32_e32 v5, vcc, 0, v5, vcc
	v_add_co_u32_e32 v0, vcc, s2, v0
	v_addc_co_u32_e32 v1, vcc, v1, v7, vcc
	global_load_dword v15, v[0:1], off
	v_add_co_u32_e32 v0, vcc, s2, v0
	v_addc_co_u32_e32 v1, vcc, v1, v7, vcc
	global_load_dword v16, v[0:1], off
	v_add_co_u32_e32 v0, vcc, s2, v0
	v_addc_co_u32_e32 v1, vcc, v1, v7, vcc
	global_load_dword v19, v[0:1], off
	global_load_dword v47, v37, s[12:13] offset:1680
	v_add_co_u32_e32 v0, vcc, s2, v0
	v_addc_co_u32_e32 v1, vcc, v1, v7, vcc
	global_load_dword v20, v[0:1], off
	global_load_dword v46, v37, s[12:13] offset:1848
	v_add_co_u32_e32 v0, vcc, s2, v0
	v_addc_co_u32_e32 v1, vcc, v1, v7, vcc
	global_load_dword v7, v[0:1], off
	global_load_dword v45, v37, s[12:13] offset:2016
	v_lshrrev_b32_e32 v3, 1, v3
	v_lshl_add_u32 v3, v3, 1, v3
	v_sub_u32_e32 v3, v6, v3
	v_mul_u32_u24_e32 v3, 0x222, v3
	v_lshlrev_b32_e32 v59, 2, v3
	s_waitcnt vmcnt(24)
	v_lshrrev_b32_e32 v17, 16, v2
	v_mul_f16_sdwa v18, v58, v17 dst_sel:DWORD dst_unused:UNUSED_PAD src0_sel:WORD_1 src1_sel:DWORD
	v_fma_f16 v18, v58, v2, v18
	v_mul_f16_sdwa v2, v58, v2 dst_sel:DWORD dst_unused:UNUSED_PAD src0_sel:WORD_1 src1_sel:DWORD
	v_fma_f16 v2, v58, v17, -v2
	v_add_u32_e32 v44, v37, v59
	v_pack_b32_f16 v2, v18, v2
	v_cmp_gt_u16_e32 vcc, 3, v56
	s_waitcnt vmcnt(21)
	v_lshrrev_b32_e32 v3, 16, v8
	v_mul_f16_sdwa v17, v57, v3 dst_sel:DWORD dst_unused:UNUSED_PAD src0_sel:WORD_1 src1_sel:DWORD
	v_fma_f16 v17, v57, v8, v17
	v_mul_f16_sdwa v8, v57, v8 dst_sel:DWORD dst_unused:UNUSED_PAD src0_sel:WORD_1 src1_sel:DWORD
	v_fma_f16 v3, v57, v3, -v8
	v_pack_b32_f16 v3, v17, v3
	ds_write2_b32 v44, v2, v3 offset1:42
	s_waitcnt vmcnt(20)
	v_lshrrev_b32_e32 v2, 16, v9
	v_mul_f16_sdwa v3, v55, v2 dst_sel:DWORD dst_unused:UNUSED_PAD src0_sel:WORD_1 src1_sel:DWORD
	v_mul_f16_sdwa v8, v55, v9 dst_sel:DWORD dst_unused:UNUSED_PAD src0_sel:WORD_1 src1_sel:DWORD
	v_fma_f16 v3, v55, v9, v3
	v_fma_f16 v2, v55, v2, -v8
	v_pack_b32_f16 v2, v3, v2
	s_waitcnt vmcnt(19)
	v_lshrrev_b32_e32 v3, 16, v10
	s_waitcnt vmcnt(18)
	v_mul_f16_sdwa v8, v54, v3 dst_sel:DWORD dst_unused:UNUSED_PAD src0_sel:WORD_1 src1_sel:DWORD
	v_mul_f16_sdwa v9, v54, v10 dst_sel:DWORD dst_unused:UNUSED_PAD src0_sel:WORD_1 src1_sel:DWORD
	v_fma_f16 v8, v54, v10, v8
	v_fma_f16 v3, v54, v3, -v9
	v_pack_b32_f16 v3, v8, v3
	ds_write2_b32 v44, v2, v3 offset0:84 offset1:126
	s_waitcnt vmcnt(13)
	v_lshrrev_b32_e32 v2, 16, v11
	v_mul_f16_sdwa v3, v53, v2 dst_sel:DWORD dst_unused:UNUSED_PAD src0_sel:WORD_1 src1_sel:DWORD
	v_mul_f16_sdwa v8, v53, v11 dst_sel:DWORD dst_unused:UNUSED_PAD src0_sel:WORD_1 src1_sel:DWORD
	v_fma_f16 v3, v53, v11, v3
	v_fma_f16 v2, v53, v2, -v8
	v_pack_b32_f16 v2, v3, v2
	s_waitcnt vmcnt(10)
	v_lshrrev_b32_e32 v3, 16, v12
	v_mul_f16_sdwa v8, v52, v3 dst_sel:DWORD dst_unused:UNUSED_PAD src0_sel:WORD_1 src1_sel:DWORD
	v_mul_f16_sdwa v9, v52, v12 dst_sel:DWORD dst_unused:UNUSED_PAD src0_sel:WORD_1 src1_sel:DWORD
	v_fma_f16 v8, v52, v12, v8
	v_fma_f16 v3, v52, v3, -v9
	v_pack_b32_f16 v3, v8, v3
	ds_write2_b32 v44, v2, v3 offset0:168 offset1:210
	s_waitcnt vmcnt(9)
	v_lshrrev_b32_e32 v2, 16, v13
	v_mul_f16_sdwa v3, v51, v2 dst_sel:DWORD dst_unused:UNUSED_PAD src0_sel:WORD_1 src1_sel:DWORD
	v_mul_f16_sdwa v8, v51, v13 dst_sel:DWORD dst_unused:UNUSED_PAD src0_sel:WORD_1 src1_sel:DWORD
	v_fma_f16 v3, v51, v13, v3
	v_fma_f16 v2, v51, v2, -v8
	v_pack_b32_f16 v3, v3, v2
	s_waitcnt vmcnt(8)
	v_lshrrev_b32_e32 v2, 16, v14
	v_mul_f16_sdwa v8, v50, v2 dst_sel:DWORD dst_unused:UNUSED_PAD src0_sel:WORD_1 src1_sel:DWORD
	v_mul_f16_sdwa v9, v50, v14 dst_sel:DWORD dst_unused:UNUSED_PAD src0_sel:WORD_1 src1_sel:DWORD
	v_fma_f16 v8, v50, v14, v8
	v_fma_f16 v2, v50, v2, -v9
	v_pack_b32_f16 v8, v8, v2
	v_add_u32_e32 v2, 0x200, v44
	ds_write2_b32 v2, v3, v8 offset0:124 offset1:166
	s_waitcnt vmcnt(7)
	v_lshrrev_b32_e32 v3, 16, v15
	v_mul_f16_sdwa v8, v49, v3 dst_sel:DWORD dst_unused:UNUSED_PAD src0_sel:WORD_1 src1_sel:DWORD
	v_mul_f16_sdwa v9, v49, v15 dst_sel:DWORD dst_unused:UNUSED_PAD src0_sel:WORD_1 src1_sel:DWORD
	v_fma_f16 v8, v49, v15, v8
	v_fma_f16 v3, v49, v3, -v9
	v_pack_b32_f16 v8, v8, v3
	s_waitcnt vmcnt(6)
	v_lshrrev_b32_e32 v3, 16, v16
	v_mul_f16_sdwa v9, v48, v3 dst_sel:DWORD dst_unused:UNUSED_PAD src0_sel:WORD_1 src1_sel:DWORD
	v_mul_f16_sdwa v10, v48, v16 dst_sel:DWORD dst_unused:UNUSED_PAD src0_sel:WORD_1 src1_sel:DWORD
	v_fma_f16 v9, v48, v16, v9
	v_fma_f16 v3, v48, v3, -v10
	v_pack_b32_f16 v9, v9, v3
	v_add_u32_e32 v3, 0x400, v44
	ds_write2_b32 v3, v8, v9 offset0:80 offset1:122
	s_waitcnt vmcnt(5)
	v_lshrrev_b32_e32 v8, 16, v19
	s_waitcnt vmcnt(4)
	v_mul_f16_sdwa v9, v47, v8 dst_sel:DWORD dst_unused:UNUSED_PAD src0_sel:WORD_1 src1_sel:DWORD
	v_mul_f16_sdwa v10, v47, v19 dst_sel:DWORD dst_unused:UNUSED_PAD src0_sel:WORD_1 src1_sel:DWORD
	v_fma_f16 v9, v47, v19, v9
	v_fma_f16 v8, v47, v8, -v10
	v_pack_b32_f16 v8, v9, v8
	s_waitcnt vmcnt(3)
	v_lshrrev_b32_e32 v9, 16, v20
	s_waitcnt vmcnt(2)
	v_mul_f16_sdwa v10, v46, v9 dst_sel:DWORD dst_unused:UNUSED_PAD src0_sel:WORD_1 src1_sel:DWORD
	v_mul_f16_sdwa v11, v46, v20 dst_sel:DWORD dst_unused:UNUSED_PAD src0_sel:WORD_1 src1_sel:DWORD
	v_fma_f16 v10, v46, v20, v10
	v_fma_f16 v9, v46, v9, -v11
	v_pack_b32_f16 v9, v10, v9
	ds_write2_b32 v3, v8, v9 offset0:164 offset1:206
	s_waitcnt vmcnt(1)
	v_lshrrev_b32_e32 v8, 16, v7
	s_waitcnt vmcnt(0)
	v_mul_f16_sdwa v9, v45, v8 dst_sel:DWORD dst_unused:UNUSED_PAD src0_sel:WORD_1 src1_sel:DWORD
	v_fma_f16 v9, v45, v7, v9
	v_mul_f16_sdwa v7, v45, v7 dst_sel:DWORD dst_unused:UNUSED_PAD src0_sel:WORD_1 src1_sel:DWORD
	v_fma_f16 v7, v45, v8, -v7
	v_pack_b32_f16 v7, v9, v7
	ds_write_b32 v44, v7 offset:2016
	s_and_saveexec_b64 s[14:15], vcc
	s_cbranch_execz .LBB0_3
; %bb.2:
	v_mov_b32_e32 v7, 0xfffff8bc
	v_mad_u64_u32 v[0:1], s[16:17], s0, v7, v[0:1]
	s_mulk_i32 s1, 0xf8bc
	s_sub_i32 s0, s1, s0
	v_add_u32_e32 v1, s0, v1
	global_load_dword v7, v[0:1], off
	global_load_dword v8, v[4:5], off offset:156
	v_mov_b32_e32 v9, s3
	v_add_co_u32_e64 v0, s[0:1], s2, v0
	v_addc_co_u32_e64 v1, s[0:1], v1, v9, s[0:1]
	global_load_dword v10, v[0:1], off
	global_load_dword v11, v[4:5], off offset:324
	v_add_co_u32_e64 v0, s[0:1], s2, v0
	v_addc_co_u32_e64 v1, s[0:1], v1, v9, s[0:1]
	global_load_dword v12, v[0:1], off
	global_load_dword v13, v[4:5], off offset:492
	;; [unrolled: 4-line block ×12, first 2 shown]
	s_waitcnt vmcnt(25)
	v_lshrrev_b32_e32 v0, 16, v7
	s_waitcnt vmcnt(24)
	v_mul_f16_sdwa v1, v8, v7 dst_sel:DWORD dst_unused:UNUSED_PAD src0_sel:WORD_1 src1_sel:DWORD
	v_mul_f16_sdwa v33, v8, v0 dst_sel:DWORD dst_unused:UNUSED_PAD src0_sel:WORD_1 src1_sel:DWORD
	v_fma_f16 v0, v8, v0, -v1
	v_fma_f16 v7, v8, v7, v33
	v_pack_b32_f16 v0, v7, v0
	s_waitcnt vmcnt(23)
	v_lshrrev_b32_e32 v1, 16, v10
	s_waitcnt vmcnt(22)
	v_mul_f16_sdwa v8, v11, v1 dst_sel:DWORD dst_unused:UNUSED_PAD src0_sel:WORD_1 src1_sel:DWORD
	v_fma_f16 v7, v11, v10, v8
	v_mul_f16_sdwa v8, v11, v10 dst_sel:DWORD dst_unused:UNUSED_PAD src0_sel:WORD_1 src1_sel:DWORD
	v_fma_f16 v1, v11, v1, -v8
	v_pack_b32_f16 v1, v7, v1
	ds_write2_b32 v44, v0, v1 offset0:39 offset1:81
	s_waitcnt vmcnt(21)
	v_lshrrev_b32_e32 v0, 16, v12
	s_waitcnt vmcnt(20)
	v_mul_f16_sdwa v1, v13, v0 dst_sel:DWORD dst_unused:UNUSED_PAD src0_sel:WORD_1 src1_sel:DWORD
	v_mul_f16_sdwa v7, v13, v12 dst_sel:DWORD dst_unused:UNUSED_PAD src0_sel:WORD_1 src1_sel:DWORD
	v_fma_f16 v1, v13, v12, v1
	v_fma_f16 v0, v13, v0, -v7
	v_pack_b32_f16 v0, v1, v0
	s_waitcnt vmcnt(19)
	v_lshrrev_b32_e32 v1, 16, v14
	s_waitcnt vmcnt(18)
	v_mul_f16_sdwa v7, v15, v1 dst_sel:DWORD dst_unused:UNUSED_PAD src0_sel:WORD_1 src1_sel:DWORD
	v_mul_f16_sdwa v8, v15, v14 dst_sel:DWORD dst_unused:UNUSED_PAD src0_sel:WORD_1 src1_sel:DWORD
	v_fma_f16 v7, v15, v14, v7
	v_fma_f16 v1, v15, v1, -v8
	v_pack_b32_f16 v1, v7, v1
	ds_write2_b32 v44, v0, v1 offset0:123 offset1:165
	s_waitcnt vmcnt(17)
	v_lshrrev_b32_e32 v0, 16, v16
	s_waitcnt vmcnt(16)
	v_mul_f16_sdwa v1, v17, v0 dst_sel:DWORD dst_unused:UNUSED_PAD src0_sel:WORD_1 src1_sel:DWORD
	v_mul_f16_sdwa v7, v17, v16 dst_sel:DWORD dst_unused:UNUSED_PAD src0_sel:WORD_1 src1_sel:DWORD
	v_fma_f16 v1, v17, v16, v1
	v_fma_f16 v0, v17, v0, -v7
	v_pack_b32_f16 v0, v1, v0
	s_waitcnt vmcnt(15)
	v_lshrrev_b32_e32 v1, 16, v18
	s_waitcnt vmcnt(14)
	v_mul_f16_sdwa v7, v19, v1 dst_sel:DWORD dst_unused:UNUSED_PAD src0_sel:WORD_1 src1_sel:DWORD
	v_mul_f16_sdwa v8, v19, v18 dst_sel:DWORD dst_unused:UNUSED_PAD src0_sel:WORD_1 src1_sel:DWORD
	v_fma_f16 v7, v19, v18, v7
	;; [unrolled: 17-line block ×5, first 2 shown]
	v_fma_f16 v1, v31, v1, -v8
	v_pack_b32_f16 v1, v7, v1
	ds_write2_b32 v3, v0, v1 offset0:203 offset1:245
	s_waitcnt vmcnt(1)
	v_lshrrev_b32_e32 v0, 16, v9
	s_waitcnt vmcnt(0)
	v_mul_f16_sdwa v1, v32, v0 dst_sel:DWORD dst_unused:UNUSED_PAD src0_sel:WORD_1 src1_sel:DWORD
	v_mul_f16_sdwa v7, v32, v9 dst_sel:DWORD dst_unused:UNUSED_PAD src0_sel:WORD_1 src1_sel:DWORD
	v_fma_f16 v1, v32, v9, v1
	v_fma_f16 v0, v32, v0, -v7
	v_pack_b32_f16 v0, v1, v0
	ds_write_b32 v44, v0 offset:2172
.LBB0_3:
	s_or_b64 exec, exec, s[14:15]
	s_waitcnt lgkmcnt(0)
	s_barrier
	ds_read2_b32 v[0:1], v44 offset1:42
	ds_read2_b32 v[19:20], v44 offset0:84 offset1:126
	ds_read2_b32 v[25:26], v44 offset0:168 offset1:210
	;; [unrolled: 1-line block ×5, first 2 shown]
	ds_read_b32 v27, v44 offset:2016
	v_mov_b32_e32 v2, 0
                                        ; implicit-def: $vgpr16
                                        ; implicit-def: $vgpr7
                                        ; implicit-def: $vgpr12
                                        ; implicit-def: $vgpr9
                                        ; implicit-def: $vgpr14
                                        ; implicit-def: $vgpr28
	s_and_saveexec_b64 s[0:1], vcc
	s_cbranch_execz .LBB0_5
; %bb.4:
	v_add_u32_e32 v9, 0x400, v44
	ds_read2_b32 v[2:3], v44 offset0:39 offset1:81
	ds_read2_b32 v[13:14], v44 offset0:123 offset1:165
	;; [unrolled: 1-line block ×6, first 2 shown]
	ds_read_b32 v28, v44 offset:2172
.LBB0_5:
	s_or_b64 exec, exec, s[0:1]
	s_waitcnt lgkmcnt(0)
	v_pk_add_f16 v30, v28, v3
	v_pk_add_f16 v34, v3, v28 neg_lo:[0,1] neg_hi:[0,1]
	v_pk_add_f16 v3, v3, v2
	v_pk_add_f16 v3, v13, v3
	v_pk_add_f16 v36, v13, v10 neg_lo:[0,1] neg_hi:[0,1]
	v_pk_add_f16 v3, v14, v3
	s_mov_b32 s25, 0x3770ba95
	s_mov_b32 s0, 0xba95
	v_pk_add_f16 v38, v14, v9 neg_lo:[0,1] neg_hi:[0,1]
	v_pk_add_f16 v3, v11, v3
	v_pk_mul_f16 v63, v36, s25
	s_mov_b32 s25, 0xb94ebbf1
	s_movk_i32 s15, 0x388b
	s_mov_b32 s1, 0xbbf1
	v_pk_add_f16 v29, v10, v13
	v_mul_f16_sdwa v43, v36, s0 dst_sel:DWORD dst_unused:UNUSED_PAD src0_sel:WORD_1 src1_sel:DWORD
	v_pk_add_f16 v39, v11, v8 neg_lo:[0,1] neg_hi:[0,1]
	v_pk_add_f16 v62, v12, v3
	v_pk_mul_f16 v3, v38, s25
	s_mov_b32 s25, 0x3a95bb7b
	v_mul_f16_sdwa v61, v34, s0 dst_sel:DWORD dst_unused:UNUSED_PAD src0_sel:WORD_1 src1_sel:DWORD
	v_mul_f16_sdwa v75, v34, s1 dst_sel:DWORD dst_unused:UNUSED_PAD src0_sel:WORD_1 src1_sel:DWORD
	s_movk_i32 s14, 0x2fb7
	s_mov_b32 s17, 0xbb7b
	s_mov_b32 s21, 0xb3a8
	v_fma_f16 v64, v29, s15, -v43
	v_pk_add_f16 v31, v9, v14
	v_mul_f16_sdwa v41, v38, s1 dst_sel:DWORD dst_unused:UNUSED_PAD src0_sel:WORD_1 src1_sel:DWORD
	v_pk_add_f16 v35, v12, v7 neg_lo:[0,1] neg_hi:[0,1]
	s_mov_b32 s26, 0x388b3b15
	s_mov_b32 s27, 0x2fb7b9fd
	v_pk_mul_f16 v60, v39, s25
	s_mov_b32 s25, 0xbb7bb94e
	v_fma_f16 v65, v30, s15, -v61
	v_fma_f16 v66, v30, s14, -v75
	s_mov_b32 s18, 0xb5ac
	s_mov_b32 s19, 0xb94e
	;; [unrolled: 1-line block ×3, first 2 shown]
	v_mul_f16_sdwa v76, v36, s17 dst_sel:DWORD dst_unused:UNUSED_PAD src0_sel:WORD_1 src1_sel:DWORD
	v_mul_f16_sdwa v78, v36, s21 dst_sel:DWORD dst_unused:UNUSED_PAD src0_sel:WORD_1 src1_sel:DWORD
	v_fma_f16 v68, v31, s14, -v41
	s_movk_i32 s2, 0x3b7b
	v_pk_add_f16 v32, v8, v11
	v_mul_f16_sdwa v42, v39, s17 dst_sel:DWORD dst_unused:UNUSED_PAD src0_sel:WORD_1 src1_sel:DWORD
	v_pk_add_f16 v33, v7, v12
	v_pk_fma_f16 v11, v29, s26, v63 op_sel:[0,0,1] op_sel_hi:[1,1,0]
	v_pk_fma_f16 v12, v31, s27, v3 op_sel:[0,0,1] op_sel_hi:[1,1,0]
	s_mov_b32 s29, 0xb5ac388b
	v_alignbit_b32 v67, v64, v7, 16
	s_mov_b32 s30, 0xb9fdb5ac
	v_pk_mul_f16 v64, v35, s25
	s_mov_b32 s20, 0xb9fd
	v_fma_f16 v77, v29, s18, -v76
	v_fma_f16 v79, v29, s22, -v78
	s_movk_i32 s3, 0x394e
	s_movk_i32 s24, 0x3770
	v_mul_f16_sdwa v80, v38, s21 dst_sel:DWORD dst_unused:UNUSED_PAD src0_sel:WORD_1 src1_sel:DWORD
	v_mul_f16_sdwa v82, v38, s2 dst_sel:DWORD dst_unused:UNUSED_PAD src0_sel:WORD_1 src1_sel:DWORD
	v_fma_f16 v69, v32, s18, -v42
	v_mul_f16_sdwa v40, v35, s19 dst_sel:DWORD dst_unused:UNUSED_PAD src0_sel:WORD_1 src1_sel:DWORD
	v_pk_fma_f16 v13, v32, s29, v60 op_sel:[0,0,1] op_sel_hi:[1,1,0]
	v_alignbit_b32 v68, v68, v8, 16
	v_alignbit_b32 v71, v7, v11, 16
	;; [unrolled: 1-line block ×3, first 2 shown]
	v_pk_fma_f16 v7, v33, s30, v64 op_sel:[0,0,1] op_sel_hi:[1,1,0]
	v_add_f16_e32 v8, v65, v2
	v_add_f16_e32 v11, v66, v2
	s_movk_i32 s16, 0x3b15
	s_movk_i32 s23, 0x3bf1
	v_fma_f16 v81, v31, s22, -v80
	v_fma_f16 v70, v33, s20, -v40
	v_alignbit_b32 v69, v69, v9, 16
	v_alignbit_b32 v73, v9, v13, 16
	;; [unrolled: 1-line block ×3, first 2 shown]
	v_fma_f16 v7, v31, s18, -v82
	v_mul_f16_sdwa v9, v39, s3 dst_sel:DWORD dst_unused:UNUSED_PAD src0_sel:WORD_1 src1_sel:DWORD
	v_add_f16_e32 v8, v77, v8
	v_add_f16_e32 v11, v79, v11
	v_mul_f16_sdwa v12, v39, s24 dst_sel:DWORD dst_unused:UNUSED_PAD src0_sel:WORD_1 src1_sel:DWORD
	v_alignbit_b32 v70, v70, v10, 16
	v_fma_f16 v10, v32, s20, -v9
	v_add_f16_e32 v8, v81, v8
	v_fma_f16 v13, v32, s16, -v12
	v_add_f16_e32 v7, v7, v11
	v_mul_f16_sdwa v11, v35, s23 dst_sel:DWORD dst_unused:UNUSED_PAD src0_sel:WORD_1 src1_sel:DWORD
	v_add_f16_e32 v8, v10, v8
	v_fma_f16 v10, v33, s14, -v11
	v_add_f16_e32 v7, v13, v7
	v_mul_f16_sdwa v13, v35, s0 dst_sel:DWORD dst_unused:UNUSED_PAD src0_sel:WORD_1 src1_sel:DWORD
	v_pk_add_f16 v66, v15, v16 neg_lo:[0,1] neg_hi:[0,1]
	v_add_f16_e32 v8, v10, v8
	v_fma_f16 v10, v33, s15, -v13
	v_pk_add_f16 v65, v16, v15
	v_mul_f16_sdwa v14, v66, s24 dst_sel:DWORD dst_unused:UNUSED_PAD src0_sel:WORD_1 src1_sel:DWORD
	v_add_f16_e32 v10, v10, v7
	v_fma_f16 v7, v65, s16, -v14
	v_mul_f16_sdwa v77, v66, s19 dst_sel:DWORD dst_unused:UNUSED_PAD src0_sel:WORD_1 src1_sel:DWORD
	v_add_f16_e32 v7, v7, v8
	v_fma_f16 v8, v65, s20, -v77
	v_add_f16_e32 v8, v8, v10
	v_fma_f16 v10, v30, s15, v61
	v_fma_f16 v61, v29, s18, v76
	v_add_f16_e32 v10, v10, v2
	v_add_f16_e32 v10, v61, v10
	v_fma_f16 v61, v30, s14, v75
	v_fma_f16 v75, v29, s22, v78
	v_add_f16_e32 v61, v61, v2
	v_add_f16_e32 v61, v75, v61
	v_fma_f16 v75, v31, s22, v80
	v_add_f16_e32 v10, v75, v10
	v_fma_f16 v75, v31, s18, v82
	v_fma_f16 v9, v32, s20, v9
	v_add_f16_e32 v61, v75, v61
	v_add_f16_e32 v9, v9, v10
	v_fma_f16 v12, v32, s16, v12
	v_fma_f16 v11, v33, s14, v11
	v_mul_f16_sdwa v75, v34, s17 dst_sel:DWORD dst_unused:UNUSED_PAD src0_sel:WORD_1 src1_sel:DWORD
	v_add_f16_e32 v12, v12, v61
	v_add_f16_e32 v9, v11, v9
	v_fma_f16 v11, v33, s15, v13
	v_fma_f16 v10, v30, s18, -v75
	v_mul_f16_sdwa v61, v34, s19 dst_sel:DWORD dst_unused:UNUSED_PAD src0_sel:WORD_1 src1_sel:DWORD
	v_add_f16_e32 v11, v11, v12
	v_mul_f16_sdwa v13, v36, s3 dst_sel:DWORD dst_unused:UNUSED_PAD src0_sel:WORD_1 src1_sel:DWORD
	v_fma_f16 v12, v65, s16, v14
	v_fma_f16 v14, v65, s20, v77
	v_fma_f16 v76, v30, s20, -v61
	v_add_f16_e32 v12, v12, v9
	v_add_f16_e32 v11, v14, v11
	v_fma_f16 v9, v29, s20, -v13
	v_mul_f16_sdwa v14, v36, s23 dst_sel:DWORD dst_unused:UNUSED_PAD src0_sel:WORD_1 src1_sel:DWORD
	v_add_f16_e32 v10, v10, v2
	v_add_f16_e32 v9, v9, v10
	v_fma_f16 v10, v29, s14, -v14
	v_add_f16_e32 v76, v76, v2
	v_add_f16_e32 v10, v10, v76
	v_mul_f16_sdwa v76, v38, s24 dst_sel:DWORD dst_unused:UNUSED_PAD src0_sel:WORD_1 src1_sel:DWORD
	v_fma_f16 v77, v31, s16, -v76
	v_add_f16_e32 v9, v77, v9
	v_mul_f16_sdwa v77, v38, s0 dst_sel:DWORD dst_unused:UNUSED_PAD src0_sel:WORD_1 src1_sel:DWORD
	v_fma_f16 v78, v31, s15, -v77
	v_add_f16_e32 v10, v78, v10
	v_mul_f16_sdwa v78, v39, s1 dst_sel:DWORD dst_unused:UNUSED_PAD src0_sel:WORD_1 src1_sel:DWORD
	v_fma_f16 v79, v32, s14, -v78
	s_movk_i32 s28, 0x33a8
	v_add_f16_e32 v9, v79, v9
	v_mul_f16_sdwa v79, v39, s28 dst_sel:DWORD dst_unused:UNUSED_PAD src0_sel:WORD_1 src1_sel:DWORD
	v_fma_f16 v80, v32, s22, -v79
	v_fma_f16 v75, v30, s18, v75
	v_fma_f16 v61, v30, s20, v61
	v_add_f16_e32 v10, v80, v10
	v_mul_f16_sdwa v80, v35, s28 dst_sel:DWORD dst_unused:UNUSED_PAD src0_sel:WORD_1 src1_sel:DWORD
	v_fma_f16 v13, v29, s20, v13
	v_add_f16_e32 v75, v75, v2
	v_fma_f16 v14, v29, s14, v14
	v_add_f16_e32 v61, v61, v2
	v_fma_f16 v81, v33, s22, -v80
	v_add_f16_e32 v13, v13, v75
	v_add_f16_e32 v14, v14, v61
	v_fma_f16 v61, v31, s16, v76
	v_add_f16_e32 v9, v81, v9
	v_mul_f16_sdwa v81, v35, s24 dst_sel:DWORD dst_unused:UNUSED_PAD src0_sel:WORD_1 src1_sel:DWORD
	v_add_f16_e32 v13, v61, v13
	v_fma_f16 v61, v31, s15, v77
	v_fma_f16 v82, v33, s16, -v81
	s_movk_i32 s25, 0x3a95
	v_add_f16_e32 v14, v61, v14
	v_fma_f16 v61, v32, s14, v78
	v_add_f16_e32 v10, v82, v10
	v_mul_f16_sdwa v82, v66, s25 dst_sel:DWORD dst_unused:UNUSED_PAD src0_sel:WORD_1 src1_sel:DWORD
	v_add_f16_e32 v13, v61, v13
	v_fma_f16 v61, v32, s22, v79
	v_fma_f16 v83, v65, s15, -v82
	v_add_f16_e32 v14, v61, v14
	v_fma_f16 v61, v33, s22, v80
	v_add_f16_e32 v9, v83, v9
	v_mul_f16_sdwa v83, v66, s17 dst_sel:DWORD dst_unused:UNUSED_PAD src0_sel:WORD_1 src1_sel:DWORD
	v_add_f16_e32 v13, v61, v13
	v_fma_f16 v61, v33, s16, v81
	v_add_f16_e32 v61, v61, v14
	v_pk_add_f16 v75, v0, v1
	v_fma_f16 v14, v65, s15, v82
	v_fma_f16 v76, v65, s18, v83
	v_add_f16_e32 v14, v14, v13
	v_add_f16_e32 v13, v76, v61
	v_pk_add_f16 v61, v75, v19
	v_pk_add_f16 v61, v61, v20
	;; [unrolled: 1-line block ×7, first 2 shown]
	v_pk_add_f16 v26, v26, v23 neg_lo:[0,1] neg_hi:[0,1]
	v_pk_add_f16 v23, v61, v23
	v_pk_add_f16 v61, v23, v24
	;; [unrolled: 1-line block ×3, first 2 shown]
	v_pk_add_f16 v25, v25, v24 neg_lo:[0,1] neg_hi:[0,1]
	v_pk_add_f16 v88, v22, v19
	v_pk_add_f16 v24, v19, v22 neg_lo:[0,1] neg_hi:[0,1]
	v_pk_add_f16 v23, v21, v20
	;; [unrolled: 2-line block ×3, first 2 shown]
	s_mov_b32 s34, 0xb770
	v_pk_add_f16 v96, v20, v22
	v_pk_add_f16 v20, v1, v27 neg_lo:[0,1] neg_hi:[0,1]
	v_pk_add_f16 v21, v27, v1
	v_mul_f16_sdwa v97, v20, s34 dst_sel:DWORD dst_unused:UNUSED_PAD src0_sel:WORD_1 src1_sel:DWORD
	v_fma_f16 v1, v21, s16, -v97
	v_mul_f16_sdwa v98, v24, s0 dst_sel:DWORD dst_unused:UNUSED_PAD src0_sel:WORD_1 src1_sel:DWORD
	s_mov_b32 s33, 0x3b15388b
	v_add_f16_e32 v1, v0, v1
	v_fma_f16 v22, v88, s15, -v98
	s_mov_b32 s35, 0xba95b770
	v_pk_mul_f16 v61, v21, s33
	s_mov_b32 s33, 0x388bb5ac
	v_add_f16_e32 v22, v22, v1
	s_mov_b32 s31, 0xffff
	v_pk_fma_f16 v1, v20, s35, v61 op_sel:[0,0,1] op_sel_hi:[1,1,0] neg_lo:[1,0,0] neg_hi:[1,0,0]
	v_pk_fma_f16 v99, v20, s35, v61 op_sel:[0,0,1] op_sel_hi:[1,1,0]
	s_mov_b32 s35, 0xbb7bba95
	v_pk_mul_f16 v76, v88, s33
	v_bfi_b32 v61, s31, v99, v1
	v_pk_fma_f16 v89, v24, s35, v76 op_sel:[0,0,1] op_sel_hi:[1,1,0] neg_lo:[1,0,0] neg_hi:[1,0,0]
	v_pk_fma_f16 v100, v24, s35, v76 op_sel:[0,0,1] op_sel_hi:[1,1,0]
	v_pk_add_f16 v61, v0, v61 op_sel:[1,0] op_sel_hi:[0,1]
	v_bfi_b32 v76, s31, v100, v89
	v_lshrrev_b32_e32 v101, 16, v21
	v_mul_f16_e32 v102, 0xba95, v20
	v_pk_add_f16 v61, v76, v61
	v_fma_f16 v76, v101, s15, v102
	v_lshrrev_b32_e32 v103, 16, v88
	v_mul_f16_e32 v104, 0xbb7b, v24
	v_add_f16_sdwa v76, v0, v76 dst_sel:DWORD dst_unused:UNUSED_PAD src0_sel:WORD_1 src1_sel:DWORD
	v_fma_f16 v77, v103, s18, v104
	v_mul_f16_sdwa v105, v19, s1 dst_sel:DWORD dst_unused:UNUSED_PAD src0_sel:WORD_1 src1_sel:DWORD
	v_add_f16_e32 v76, v77, v76
	v_fma_f16 v77, v23, s14, -v105
	s_mov_b32 s33, 0x2fb7bbc4
	v_add_f16_e32 v22, v77, v22
	s_mov_b32 s35, 0xb3a8bbf1
	v_pk_mul_f16 v77, v23, s33
	v_pk_fma_f16 v90, v19, s35, v77 op_sel:[0,0,1] op_sel_hi:[1,1,0] neg_lo:[1,0,0] neg_hi:[1,0,0]
	v_pk_fma_f16 v106, v19, s35, v77 op_sel:[0,0,1] op_sel_hi:[1,1,0]
	v_bfi_b32 v77, s31, v106, v90
	v_lshrrev_b32_e32 v107, 16, v23
	v_mul_f16_e32 v108, 0xb3a8, v19
	v_pk_add_f16 v61, v77, v61
	v_fma_f16 v77, v107, s22, v108
	v_mul_f16_sdwa v109, v25, s17 dst_sel:DWORD dst_unused:UNUSED_PAD src0_sel:WORD_1 src1_sel:DWORD
	v_add_f16_e32 v76, v77, v76
	v_fma_f16 v77, v75, s18, -v109
	s_mov_b32 s33, 0xb5acb9fd
	v_add_f16_e32 v22, v77, v22
	s_mov_b32 s35, 0x394ebb7b
	v_pk_mul_f16 v77, v75, s33
	v_pk_fma_f16 v92, v25, s35, v77 op_sel:[0,0,1] op_sel_hi:[1,1,0] neg_lo:[1,0,0] neg_hi:[1,0,0]
	v_pk_fma_f16 v110, v25, s35, v77 op_sel:[0,0,1] op_sel_hi:[1,1,0]
	v_bfi_b32 v77, s31, v110, v92
	v_lshrrev_b32_e32 v111, 16, v75
	v_mul_f16_e32 v112, 0x394e, v25
	v_pk_add_f16 v61, v77, v61
	v_fma_f16 v77, v111, s20, v112
	v_mul_f16_sdwa v113, v26, s19 dst_sel:DWORD dst_unused:UNUSED_PAD src0_sel:WORD_1 src1_sel:DWORD
	v_add_f16_e32 v76, v77, v76
	v_fma_f16 v77, v87, s20, -v113
	s_mov_b32 s33, 0xb9fd2fb7
	v_add_f16_e32 v77, v77, v22
	s_mov_b32 s35, 0x3bf1b94e
	v_pk_mul_f16 v22, v87, s33
	v_pk_add_f16 v91, v18, v17
	v_pk_add_f16 v17, v17, v18 neg_lo:[0,1] neg_hi:[0,1]
	v_pk_fma_f16 v93, v26, s35, v22 op_sel:[0,0,1] op_sel_hi:[1,1,0] neg_lo:[1,0,0] neg_hi:[1,0,0]
	v_pk_fma_f16 v22, v26, s35, v22 op_sel:[0,0,1] op_sel_hi:[1,1,0]
	v_mul_f16_sdwa v94, v17, s21 dst_sel:DWORD dst_unused:UNUSED_PAD src0_sel:WORD_1 src1_sel:DWORD
	v_bfi_b32 v78, s31, v22, v93
	v_lshrrev_b32_e32 v95, 16, v87
	v_mul_f16_e32 v114, 0x3bf1, v26
	v_fma_f16 v18, v91, s22, -v94
	s_mov_b32 s35, 0xbbc43b15
	v_pk_add_f16 v61, v78, v61
	v_fma_f16 v78, v95, s14, v114
	v_add_f16_e32 v77, v18, v77
	s_mov_b32 s33, 0x3770b3a8
	v_pk_mul_f16 v18, v91, s35
	v_add_f16_e32 v76, v78, v76
	v_pk_fma_f16 v115, v17, s33, v18 op_sel:[0,0,1] op_sel_hi:[1,1,0] neg_lo:[1,0,0] neg_hi:[1,0,0]
	v_pk_fma_f16 v78, v17, s33, v18 op_sel:[0,0,1] op_sel_hi:[1,1,0]
	v_bfi_b32 v78, s31, v78, v115
	v_lshrrev_b32_e32 v116, 16, v91
	v_mul_f16_e32 v117, 0x3770, v17
	v_pk_add_f16 v61, v78, v61
	v_fma_f16 v78, v116, s16, v117
	v_add_f16_e32 v76, v78, v76
	v_alignbit_b32 v76, v76, v61, 16
	v_pack_b32_f16 v77, v77, v61
	v_mul_lo_u16_e32 v61, 13, v56
	v_lshl_add_u32 v61, v61, 2, v59
	v_fma_f16 v84, v65, s18, -v83
	s_barrier
	ds_write2_b32 v61, v77, v76 offset0:1 offset1:2
	v_lshrrev_b32_e32 v76, 16, v30
	v_mul_f16_e32 v77, 0xba95, v34
	v_mul_f16_e32 v79, 0xbbf1, v34
	;; [unrolled: 1-line block ×5, first 2 shown]
	v_add_f16_e32 v10, v84, v10
	v_fma_f16 v78, v76, s15, v77
	v_fma_f16 v77, v76, s15, -v77
	v_fma_f16 v80, v76, s14, v79
	v_fma_f16 v79, v76, s14, -v79
	;; [unrolled: 2-line block ×5, first 2 shown]
	v_mul_f16_sdwa v85, v34, s34 dst_sel:DWORD dst_unused:UNUSED_PAD src0_sel:WORD_1 src1_sel:DWORD
	v_fma_f16 v86, v30, s16, v85
	v_fma_f16 v43, v29, s15, v43
	v_add_f16_e32 v86, v86, v2
	v_add_f16_e32 v43, v43, v86
	v_lshrrev_b32_e32 v86, 16, v29
	v_mul_f16_e32 v119, 0xbb7b, v36
	v_fma_f16 v120, v86, s18, v119
	v_fma_f16 v119, v86, s18, -v119
	v_add_f16_sdwa v77, v77, v2 dst_sel:DWORD dst_unused:UNUSED_PAD src0_sel:DWORD src1_sel:WORD_1
	v_add_f16_sdwa v78, v78, v2 dst_sel:DWORD dst_unused:UNUSED_PAD src0_sel:DWORD src1_sel:WORD_1
	v_add_f16_e32 v77, v119, v77
	v_mul_f16_e32 v119, 0xb3a8, v36
	v_add_f16_e32 v78, v120, v78
	v_fma_f16 v120, v86, s22, v119
	v_fma_f16 v119, v86, s22, -v119
	v_add_f16_sdwa v79, v79, v2 dst_sel:DWORD dst_unused:UNUSED_PAD src0_sel:DWORD src1_sel:WORD_1
	v_add_f16_sdwa v80, v80, v2 dst_sel:DWORD dst_unused:UNUSED_PAD src0_sel:DWORD src1_sel:WORD_1
	v_add_f16_e32 v79, v119, v79
	v_mul_f16_e32 v119, 0x394e, v36
	v_add_f16_e32 v80, v120, v80
	v_fma_f16 v120, v86, s20, v119
	v_fma_f16 v119, v86, s20, -v119
	v_add_f16_sdwa v81, v81, v2 dst_sel:DWORD dst_unused:UNUSED_PAD src0_sel:DWORD src1_sel:WORD_1
	v_add_f16_sdwa v82, v82, v2 dst_sel:DWORD dst_unused:UNUSED_PAD src0_sel:DWORD src1_sel:WORD_1
	v_add_f16_e32 v81, v119, v81
	v_mul_f16_e32 v119, 0x3bf1, v36
	s_mov_b32 s34, 0xb3a8b770
	v_add_f16_e32 v82, v120, v82
	v_fma_f16 v120, v86, s14, v119
	v_fma_f16 v119, v86, s14, -v119
	v_add_f16_sdwa v83, v83, v2 dst_sel:DWORD dst_unused:UNUSED_PAD src0_sel:DWORD src1_sel:WORD_1
	s_mov_b32 s35, 0x3b15bbc4
	v_pk_mul_f16 v34, v34, s34
	v_add_f16_sdwa v84, v84, v2 dst_sel:DWORD dst_unused:UNUSED_PAD src0_sel:DWORD src1_sel:WORD_1
	v_add_f16_e32 v83, v119, v83
	v_pk_fma_f16 v119, v30, s35, v34 op_sel:[0,0,1] op_sel_hi:[1,1,0] neg_lo:[0,0,1] neg_hi:[0,0,1]
	v_add_f16_e32 v84, v120, v84
	v_pk_add_f16 v119, v119, v2
	v_pk_fma_f16 v120, v29, s26, v63 op_sel:[0,0,1] op_sel_hi:[1,1,0] neg_lo:[0,0,1] neg_hi:[0,0,1]
	v_mul_f16_e32 v36, 0x3770, v36
	v_pk_add_f16 v119, v120, v119
	v_add_f16_sdwa v76, v76, v2 dst_sel:DWORD dst_unused:UNUSED_PAD src0_sel:DWORD src1_sel:WORD_1
	v_fma_f16 v120, v86, s16, -v36
	v_fma_f16 v41, v31, s14, v41
	v_add_f16_e32 v76, v120, v76
	v_add_f16_e32 v41, v41, v43
	v_lshrrev_b32_e32 v43, 16, v31
	v_mul_f16_e32 v120, 0xb3a8, v38
	v_fma_f16 v121, v43, s22, v120
	v_fma_f16 v120, v43, s22, -v120
	v_add_f16_e32 v77, v120, v77
	v_mul_f16_e32 v120, 0x3b7b, v38
	v_add_f16_e32 v78, v121, v78
	v_fma_f16 v121, v43, s18, v120
	v_fma_f16 v120, v43, s18, -v120
	v_add_f16_e32 v79, v120, v79
	v_mul_f16_e32 v120, 0x3770, v38
	v_add_f16_e32 v80, v121, v80
	;; [unrolled: 5-line block ×3, first 2 shown]
	v_fma_f16 v121, v43, s15, v120
	v_fma_f16 v120, v43, s15, -v120
	v_add_f16_e32 v83, v120, v83
	v_pk_fma_f16 v120, v31, s27, v3 op_sel:[0,0,1] op_sel_hi:[1,1,0] neg_lo:[0,0,1] neg_hi:[0,0,1]
	v_pk_add_f16 v119, v120, v119
	v_mul_f16_e32 v120, 0xb94e, v38
	v_fma_f16 v42, v32, s18, v42
	v_add_f16_e32 v84, v121, v84
	v_fma_f16 v38, v43, s20, -v120
	v_add_f16_e32 v41, v42, v41
	v_lshrrev_b32_e32 v121, 16, v32
	v_mul_f16_e32 v42, 0x394e, v39
	v_add_f16_e32 v38, v38, v76
	v_fma_f16 v76, v121, s20, v42
	v_fma_f16 v42, v121, s20, -v42
	v_add_f16_e32 v42, v42, v77
	v_mul_f16_e32 v77, 0x3770, v39
	v_add_f16_e32 v76, v76, v78
	v_fma_f16 v78, v121, s16, v77
	v_fma_f16 v77, v121, s16, -v77
	v_add_f16_e32 v77, v77, v79
	v_mul_f16_e32 v79, 0xbbf1, v39
	v_add_f16_e32 v78, v78, v80
	v_fma_f16 v80, v121, s14, v79
	v_fma_f16 v79, v121, s14, -v79
	v_add_f16_e32 v79, v79, v81
	v_mul_f16_e32 v81, 0x33a8, v39
	v_add_f16_e32 v80, v80, v82
	v_fma_f16 v82, v121, s22, v81
	v_fma_f16 v81, v121, s22, -v81
	v_mul_f16_e32 v39, 0x3a95, v39
	v_add_f16_e32 v82, v82, v84
	v_add_f16_e32 v81, v81, v83
	v_pk_fma_f16 v83, v32, s29, v60 op_sel:[0,0,1] op_sel_hi:[1,1,0] neg_lo:[0,0,1] neg_hi:[0,0,1]
	v_fma_f16 v84, v121, s15, -v39
	v_pk_add_f16 v83, v83, v119
	v_add_f16_e32 v38, v84, v38
	v_alignbit_b32 v84, s0, v62, 16
	v_alignbit_b32 v119, s0, v15, 16
	v_pk_add_f16 v84, v84, v119
	v_alignbit_b32 v85, v85, v15, 16
	v_mul_f16_sdwa v119, v30, s16 dst_sel:WORD_1 dst_unused:UNUSED_PAD src0_sel:DWORD src1_sel:DWORD
	v_pk_add_f16 v85, v119, v85 neg_lo:[0,1] neg_hi:[0,1]
	v_bfi_b32 v84, s31, v84, v85
	v_alignbit_b32 v85, v2, v16, 16
	v_pk_add_f16 v84, v85, v84
	v_pk_add_f16 v67, v67, v84
	v_pk_add_f16 v67, v68, v67
	v_mul_f16_e32 v68, 0x3b15, v86
	s_mov_b32 s34, 0x5040100
	s_mov_b32 s36, 0x7060302
	v_perm_b32 v68, v2, v68, s34
	v_perm_b32 v63, v63, v2, s36
	v_alignbit_b32 v2, v16, v2, 16
	v_pk_fma_f16 v16, v30, s35, v34 op_sel:[0,0,1] op_sel_hi:[1,1,0]
	v_pk_mul_f16 v30, v30, s35
	v_perm_b32 v15, v15, v34, s34
	v_alignbit_b32 v30, v62, v30, 16
	v_pk_add_f16 v15, v15, v30
	v_pk_add_f16 v2, v15, v2
	v_pk_add_f16 v2, v71, v2
	v_pk_add_f16 v67, v69, v67
	v_pk_add_f16 v2, v72, v2
	v_fma_f16 v15, v33, s20, v40
	v_pk_add_f16 v67, v70, v67
	v_pk_add_f16 v2, v73, v2
	v_add_f16_e32 v15, v15, v41
	v_lshrrev_b32_e32 v30, 16, v33
	v_mul_f16_e32 v34, 0x3bf1, v35
	v_mul_f16_e32 v41, 0xba95, v35
	;; [unrolled: 1-line block ×5, first 2 shown]
	v_pk_add_f16 v2, v74, v2
	v_fma_f16 v73, v30, s18, -v35
	v_mul_f16_sdwa v74, v66, s21 dst_sel:DWORD dst_unused:UNUSED_PAD src0_sel:WORD_1 src1_sel:DWORD
	v_add_f16_e32 v73, v73, v38
	v_fma_f16 v38, v65, s22, -v74
	v_alignbit_b32 v38, v38, v28, 16
	s_mov_b32 s36, 0x3bf1b3a8
	v_fma_f16 v40, v30, s14, v34
	v_pk_add_f16 v38, v38, v67
	s_mov_b32 s35, 0xbbc42fb7
	v_pk_mul_f16 v67, v66, s36
	v_add_f16_e32 v40, v40, v76
	v_pk_fma_f16 v76, v65, s35, v67 op_sel:[0,0,1] op_sel_hi:[1,1,0]
	v_alignbit_b32 v28, v28, v76, 16
	v_pk_add_f16 v2, v28, v2
	v_fma_f16 v28, v65, s22, v74
	v_fma_f16 v34, v30, s14, -v34
	v_add_f16_e32 v86, v28, v15
	v_lshrrev_b32_e32 v15, 16, v65
	v_mul_f16_e32 v28, 0x3770, v66
	v_add_f16_e32 v34, v34, v42
	v_fma_f16 v74, v15, s16, v28
	v_fma_f16 v28, v15, s16, -v28
	v_fma_f16 v42, v30, s15, v41
	v_fma_f16 v41, v30, s15, -v41
	v_add_f16_e32 v85, v28, v34
	v_mul_f16_e32 v28, 0xb94e, v66
	v_add_f16_e32 v41, v41, v77
	v_fma_f16 v34, v15, s20, v28
	v_fma_f16 v28, v15, s20, -v28
	v_add_f16_e32 v42, v42, v78
	v_fma_f16 v69, v30, s22, v62
	v_fma_f16 v62, v30, s22, -v62
	v_add_f16_e32 v84, v28, v41
	v_mul_f16_e32 v28, 0x3a95, v66
	v_add_f16_e32 v62, v62, v79
	v_fma_f16 v71, v30, s16, v70
	v_add_f16_e32 v79, v34, v42
	v_fma_f16 v34, v15, s15, v28
	v_fma_f16 v28, v15, s15, -v28
	v_add_f16_e32 v69, v69, v80
	v_add_f16_e32 v71, v71, v82
	v_fma_f16 v70, v30, s16, -v70
	v_add_f16_e32 v82, v28, v62
	v_mul_f16_e32 v28, 0xbb7b, v66
	v_add_f16_e32 v70, v70, v81
	v_pk_fma_f16 v72, v33, s30, v64 op_sel:[0,0,1] op_sel_hi:[1,1,0] neg_lo:[0,0,1] neg_hi:[0,0,1]
	v_add_f16_e32 v77, v34, v69
	v_fma_f16 v34, v15, s18, v28
	v_fma_f16 v28, v15, s18, -v28
	v_pk_add_f16 v72, v72, v83
	v_add_f16_e32 v80, v28, v70
	v_pk_fma_f16 v28, v65, s35, v67 op_sel:[0,0,1] op_sel_hi:[1,1,0] neg_lo:[0,0,1] neg_hi:[0,0,1]
	v_pk_add_f16 v42, v28, v72
	v_pk_mul_f16 v28, v29, s26
	v_pack_b32_f16 v16, v36, v16
	v_pack_b32_f16 v28, v118, v28
	v_pk_add_f16 v16, v16, v68
	v_pk_add_f16 v28, v28, v63
	;; [unrolled: 1-line block ×3, first 2 shown]
	v_pk_mul_f16 v28, v31, s27
	v_mul_f16_e32 v29, 0xb9fd, v43
	v_pack_b32_f16 v28, v120, v28
	v_bfi_b32 v3, s31, v29, v3
	v_pk_add_f16 v3, v28, v3
	v_pk_add_f16 v3, v3, v16
	v_pk_mul_f16 v16, v32, s29
	v_mul_f16_e32 v28, 0x388b, v121
	v_pack_b32_f16 v16, v39, v16
	v_bfi_b32 v28, s31, v28, v60
	v_pk_add_f16 v16, v16, v28
	v_pk_add_f16 v3, v16, v3
	;; [unrolled: 6-line block ×3, first 2 shown]
	v_mul_f16_e32 v16, 0x2fb7, v15
	v_pk_mul_f16 v28, v65, s35
	v_mul_f16_e32 v29, 0x3bf1, v66
	v_bfi_b32 v16, s31, v16, v67
	v_pack_b32_f16 v28, v29, v28
	v_pk_add_f16 v16, v28, v16
	v_pk_add_f16 v81, v16, v3
	v_fma_f16 v3, v15, s14, -v29
	v_add_f16_e32 v83, v3, v73
	v_fma_f16 v3, v101, s15, -v102
	v_add_f16_e32 v76, v34, v71
	v_add_f16_sdwa v3, v0, v3 dst_sel:DWORD dst_unused:UNUSED_PAD src0_sel:WORD_1 src1_sel:DWORD
	v_fma_f16 v34, v103, s18, -v104
	v_add_f16_e32 v3, v34, v3
	v_mul_f16_sdwa v34, v20, s1 dst_sel:DWORD dst_unused:UNUSED_PAD src0_sel:WORD_1 src1_sel:DWORD
	v_fma_f16 v35, v21, s14, -v34
	v_mul_f16_sdwa v36, v24, s21 dst_sel:DWORD dst_unused:UNUSED_PAD src0_sel:WORD_1 src1_sel:DWORD
	v_mul_f16_e32 v15, 0xbbf1, v20
	v_add_f16_e32 v35, v0, v35
	v_fma_f16 v39, v88, s22, -v36
	v_fma_f16 v34, v21, s14, v34
	v_pk_add_f16 v16, v96, v27
	v_fma_f16 v27, v101, s14, v15
	v_fma_f16 v15, v101, s14, -v15
	v_add_f16_e32 v35, v39, v35
	v_mul_f16_e32 v39, 0xb3a8, v24
	v_add_f16_e32 v34, v0, v34
	v_fma_f16 v36, v88, s22, v36
	v_add_f16_e32 v34, v36, v34
	v_add_f16_sdwa v15, v0, v15 dst_sel:DWORD dst_unused:UNUSED_PAD src0_sel:WORD_1 src1_sel:DWORD
	v_fma_f16 v36, v103, s22, -v39
	v_add_f16_e32 v78, v74, v40
	v_add_f16_sdwa v27, v0, v27 dst_sel:DWORD dst_unused:UNUSED_PAD src0_sel:WORD_1 src1_sel:DWORD
	v_fma_f16 v40, v103, s22, v39
	v_add_f16_e32 v15, v36, v15
	v_mul_f16_sdwa v36, v20, s17 dst_sel:DWORD dst_unused:UNUSED_PAD src0_sel:WORD_1 src1_sel:DWORD
	v_add_f16_e32 v27, v40, v27
	v_fma_f16 v39, v21, s18, -v36
	v_mul_f16_sdwa v40, v24, s3 dst_sel:DWORD dst_unused:UNUSED_PAD src0_sel:WORD_1 src1_sel:DWORD
	v_mul_f16_e32 v28, 0xbb7b, v20
	v_add_f16_e32 v39, v0, v39
	v_fma_f16 v41, v88, s20, -v40
	v_fma_f16 v36, v21, s18, v36
	v_fma_f16 v29, v101, s18, v28
	v_fma_f16 v28, v101, s18, -v28
	v_add_f16_e32 v39, v41, v39
	v_mul_f16_e32 v41, 0x394e, v24
	v_add_f16_e32 v36, v0, v36
	v_fma_f16 v40, v88, s20, v40
	v_add_f16_e32 v36, v40, v36
	v_add_f16_sdwa v28, v0, v28 dst_sel:DWORD dst_unused:UNUSED_PAD src0_sel:WORD_1 src1_sel:DWORD
	v_fma_f16 v40, v103, s20, -v41
	v_add_f16_sdwa v29, v0, v29 dst_sel:DWORD dst_unused:UNUSED_PAD src0_sel:WORD_1 src1_sel:DWORD
	v_fma_f16 v43, v103, s20, v41
	v_add_f16_e32 v28, v40, v28
	v_mul_f16_sdwa v40, v20, s19 dst_sel:DWORD dst_unused:UNUSED_PAD src0_sel:WORD_1 src1_sel:DWORD
	v_add_f16_e32 v29, v43, v29
	v_fma_f16 v41, v21, s20, -v40
	v_mul_f16_sdwa v43, v24, s23 dst_sel:DWORD dst_unused:UNUSED_PAD src0_sel:WORD_1 src1_sel:DWORD
	v_mul_f16_e32 v30, 0xb94e, v20
	v_add_f16_e32 v41, v0, v41
	v_fma_f16 v60, v88, s14, -v43
	v_fma_f16 v40, v21, s20, v40
	v_fma_f16 v31, v101, s20, v30
	v_fma_f16 v30, v101, s20, -v30
	v_fma_f16 v32, v21, s16, v97
	v_add_f16_e32 v41, v60, v41
	v_mul_f16_e32 v60, 0x3bf1, v24
	v_add_f16_e32 v40, v0, v40
	v_fma_f16 v43, v88, s14, v43
	v_add_f16_e32 v32, v0, v32
	v_fma_f16 v33, v88, s15, v98
	v_add_f16_e32 v40, v43, v40
	v_fma_f16 v43, v103, s14, -v60
	v_add_f16_sdwa v30, v0, v30 dst_sel:DWORD dst_unused:UNUSED_PAD src0_sel:WORD_1 src1_sel:DWORD
	v_add_f16_e32 v32, v33, v32
	v_add_f16_e32 v30, v43, v30
	v_fma_f16 v43, v23, s14, v105
	v_add_f16_e32 v32, v43, v32
	v_fma_f16 v43, v107, s22, -v108
	v_add_f16_e32 v3, v43, v3
	v_mul_f16_sdwa v43, v19, s2 dst_sel:DWORD dst_unused:UNUSED_PAD src0_sel:WORD_1 src1_sel:DWORD
	v_fma_f16 v62, v103, s14, v60
	v_fma_f16 v60, v23, s18, -v43
	v_add_f16_e32 v35, v60, v35
	v_mul_f16_e32 v60, 0x3b7b, v19
	v_fma_f16 v43, v23, s18, v43
	v_add_f16_e32 v34, v43, v34
	v_fma_f16 v43, v107, s18, -v60
	v_add_f16_sdwa v31, v0, v31 dst_sel:DWORD dst_unused:UNUSED_PAD src0_sel:WORD_1 src1_sel:DWORD
	v_add_f16_e32 v15, v43, v15
	v_mul_f16_sdwa v43, v19, s24 dst_sel:DWORD dst_unused:UNUSED_PAD src0_sel:WORD_1 src1_sel:DWORD
	v_add_f16_e32 v31, v62, v31
	v_fma_f16 v62, v107, s18, v60
	v_fma_f16 v60, v23, s16, -v43
	v_add_f16_e32 v39, v60, v39
	v_mul_f16_e32 v60, 0x3770, v19
	v_fma_f16 v43, v23, s16, v43
	v_add_f16_e32 v36, v43, v36
	v_fma_f16 v43, v107, s16, -v60
	v_add_f16_e32 v28, v43, v28
	v_mul_f16_sdwa v43, v19, s0 dst_sel:DWORD dst_unused:UNUSED_PAD src0_sel:WORD_1 src1_sel:DWORD
	v_add_f16_e32 v27, v62, v27
	v_fma_f16 v62, v107, s16, v60
	v_fma_f16 v60, v23, s15, -v43
	v_add_f16_e32 v41, v60, v41
	v_mul_f16_e32 v60, 0xba95, v19
	v_fma_f16 v43, v23, s15, v43
	v_add_f16_e32 v40, v43, v40
	v_fma_f16 v43, v107, s15, -v60
	v_add_f16_e32 v30, v43, v30
	v_fma_f16 v43, v75, s18, v109
	v_add_f16_e32 v32, v43, v32
	v_fma_f16 v43, v111, s20, -v112
	v_add_f16_e32 v3, v43, v3
	v_mul_f16_sdwa v43, v25, s24 dst_sel:DWORD dst_unused:UNUSED_PAD src0_sel:WORD_1 src1_sel:DWORD
	v_add_f16_e32 v29, v62, v29
	v_fma_f16 v62, v107, s15, v60
	v_fma_f16 v60, v75, s16, -v43
	v_add_f16_e32 v35, v60, v35
	v_mul_f16_e32 v60, 0x3770, v25
	v_fma_f16 v43, v75, s16, v43
	v_add_f16_e32 v34, v43, v34
	v_fma_f16 v43, v111, s16, -v60
	v_add_f16_e32 v43, v43, v15
	v_mul_f16_sdwa v15, v25, s1 dst_sel:DWORD dst_unused:UNUSED_PAD src0_sel:WORD_1 src1_sel:DWORD
	v_add_f16_e32 v31, v62, v31
	v_fma_f16 v62, v111, s16, v60
	v_fma_f16 v60, v75, s14, -v15
	v_add_f16_e32 v39, v60, v39
	v_mul_f16_e32 v60, 0xbbf1, v25
	;; [unrolled: 10-line block ×3, first 2 shown]
	v_fma_f16 v36, v75, s22, v36
	v_add_f16_e32 v36, v36, v40
	v_fma_f16 v40, v111, s22, -v60
	v_add_f16_e32 v30, v40, v30
	v_fma_f16 v40, v87, s20, v113
	v_add_f16_e32 v32, v40, v32
	v_fma_f16 v40, v95, s14, -v114
	v_add_f16_e32 v40, v40, v3
	v_mul_f16_sdwa v3, v26, s0 dst_sel:DWORD dst_unused:UNUSED_PAD src0_sel:WORD_1 src1_sel:DWORD
	v_add_f16_e32 v29, v62, v29
	v_fma_f16 v62, v111, s22, v60
	v_fma_f16 v60, v87, s15, -v3
	v_add_f16_e32 v35, v60, v35
	v_mul_f16_e32 v60, 0xba95, v26
	v_fma_f16 v3, v87, s15, v3
	v_add_f16_e32 v31, v62, v31
	v_fma_f16 v62, v95, s15, v60
	v_add_f16_e32 v34, v3, v34
	v_mul_f16_sdwa v3, v26, s28 dst_sel:DWORD dst_unused:UNUSED_PAD src0_sel:WORD_1 src1_sel:DWORD
	v_add_f16_e32 v27, v62, v27
	v_fma_f16 v62, v87, s22, -v3
	v_add_f16_e32 v39, v62, v39
	v_mul_f16_e32 v62, 0x33a8, v26
	v_fma_f16 v3, v87, s22, v3
	v_add_f16_e32 v15, v3, v15
	v_fma_f16 v3, v95, s22, -v62
	v_add_f16_sdwa v1, v0, v1 dst_sel:DWORD dst_unused:UNUSED_PAD src0_sel:WORD_1 src1_sel:DWORD
	v_add_f16_e32 v28, v3, v28
	v_mul_f16_sdwa v3, v26, s24 dst_sel:DWORD dst_unused:UNUSED_PAD src0_sel:WORD_1 src1_sel:DWORD
	v_add_f16_e32 v1, v89, v1
	v_fma_f16 v63, v95, s22, v62
	v_fma_f16 v62, v87, s16, -v3
	v_add_f16_e32 v1, v90, v1
	v_add_f16_e32 v41, v62, v41
	v_mul_f16_e32 v62, 0x3770, v26
	v_fma_f16 v3, v87, s16, v3
	v_add_f16_e32 v1, v92, v1
	v_add_f16_e32 v36, v3, v36
	v_fma_f16 v3, v95, s16, -v62
	v_add_f16_e32 v1, v93, v1
	v_add_f16_e32 v30, v3, v30
	;; [unrolled: 1-line block ×3, first 2 shown]
	v_fma_f16 v1, v116, s16, -v117
	v_add_f16_e32 v40, v1, v40
	v_mul_f16_sdwa v1, v17, s19 dst_sel:DWORD dst_unused:UNUSED_PAD src0_sel:WORD_1 src1_sel:DWORD
	v_add_f16_e32 v29, v63, v29
	v_fma_f16 v63, v95, s16, v62
	v_fma_f16 v62, v91, s20, -v1
	v_add_f16_e32 v35, v62, v35
	v_mul_f16_e32 v62, 0xb9fd, v116
	v_fma_f16 v1, v91, s20, v1
	v_add_f16_e32 v31, v63, v31
	v_fma_f16 v63, v17, s19, v62
	v_add_f16_e32 v34, v1, v34
	v_mul_f16_sdwa v1, v17, s25 dst_sel:DWORD dst_unused:UNUSED_PAD src0_sel:WORD_1 src1_sel:DWORD
	v_add_f16_e32 v27, v63, v27
	v_fma_f16 v63, v91, s15, -v1
	v_add_f16_e32 v39, v63, v39
	v_mul_f16_e32 v63, 0x3a95, v17
	v_fma_f16 v64, v116, s15, v63
	v_fma_f16 v1, v91, s15, v1
	v_add_f16_e32 v29, v64, v29
	v_add_f16_e32 v64, v1, v15
	v_fma_f16 v1, v116, s15, -v63
	v_add_f16_e32 v28, v1, v28
	v_pack_b32_f16 v1, v39, v29
	v_pack_b32_f16 v15, v35, v27
	ds_write2_b32 v61, v15, v1 offset0:3 offset1:4
	v_mul_f16_sdwa v1, v17, s17 dst_sel:DWORD dst_unused:UNUSED_PAD src0_sel:WORD_1 src1_sel:DWORD
	v_fma_f16 v15, v91, s18, -v1
	v_mul_f16_e32 v29, 0xbb7b, v17
	v_add_f16_e32 v27, v15, v41
	v_fma_f16 v15, v116, s18, v29
	v_add_f16_e32 v31, v15, v31
	v_pack_b32_f16 v27, v27, v31
	ds_write2_b32 v61, v16, v27 offset1:5
	v_pk_mul_f16 v16, v21, s22 op_sel_hi:[1,0]
	v_pk_fma_f16 v21, v20, s21, v16 op_sel:[0,0,1] op_sel_hi:[1,0,0] neg_lo:[1,0,0] neg_hi:[1,0,0]
	v_pk_fma_f16 v16, v20, s21, v16 op_sel:[0,0,1] op_sel_hi:[1,0,0]
	v_pk_add_f16 v33, v0, v99 op_sel:[1,0] op_sel_hi:[0,1]
	v_pk_add_f16 v21, v0, v21 op_sel:[1,0] op_sel_hi:[0,1]
	;; [unrolled: 1-line block ×3, first 2 shown]
	v_pk_mul_f16 v16, v88, s16 op_sel_hi:[1,0]
	v_pk_fma_f16 v20, v24, s24, v16 op_sel:[0,0,1] op_sel_hi:[1,0,0] neg_lo:[1,0,0] neg_hi:[1,0,0]
	v_pk_fma_f16 v16, v24, s24, v16 op_sel:[0,0,1] op_sel_hi:[1,0,0]
	v_pk_add_f16 v0, v16, v0
	v_pk_mul_f16 v16, v23, s20 op_sel_hi:[1,0]
	v_pk_add_f16 v20, v20, v21
	v_pk_fma_f16 v21, v19, s19, v16 op_sel:[0,0,1] op_sel_hi:[1,0,0] neg_lo:[1,0,0] neg_hi:[1,0,0]
	v_pk_fma_f16 v16, v19, s19, v16 op_sel:[0,0,1] op_sel_hi:[1,0,0]
	v_pk_add_f16 v0, v16, v0
	v_pk_mul_f16 v16, v75, s15 op_sel_hi:[1,0]
	v_pk_fma_f16 v19, v25, s25, v16 op_sel:[0,0,1] op_sel_hi:[1,0,0] neg_lo:[1,0,0] neg_hi:[1,0,0]
	v_pk_fma_f16 v16, v25, s25, v16 op_sel:[0,0,1] op_sel_hi:[1,0,0]
	v_pk_add_f16 v20, v21, v20
	v_pk_add_f16 v0, v16, v0
	v_pk_mul_f16 v16, v87, s18 op_sel_hi:[1,0]
	v_pk_add_f16 v19, v19, v20
	v_pk_fma_f16 v20, v26, s17, v16 op_sel:[0,0,1] op_sel_hi:[1,0,0] neg_lo:[1,0,0] neg_hi:[1,0,0]
	v_pk_fma_f16 v16, v26, s17, v16 op_sel:[0,0,1] op_sel_hi:[1,0,0]
	v_pk_add_f16 v0, v16, v0
	v_pk_mul_f16 v16, v91, s14 op_sel_hi:[1,0]
	v_pk_add_f16 v19, v20, v19
	v_pk_fma_f16 v20, v17, s23, v16 op_sel:[0,0,1] op_sel_hi:[1,0,0] neg_lo:[1,0,0] neg_hi:[1,0,0]
	v_pk_fma_f16 v16, v17, s23, v16 op_sel:[0,0,1] op_sel_hi:[1,0,0]
	v_fma_f16 v1, v91, s18, v1
	v_fma_f16 v29, v116, s18, -v29
	v_pk_add_f16 v19, v20, v19
	v_pk_add_f16 v0, v16, v0
	;; [unrolled: 1-line block ×3, first 2 shown]
	v_add_f16_e32 v35, v1, v36
	v_fma_f16 v1, v91, s22, v94
	v_add_f16_e32 v29, v29, v30
	v_alignbit_b32 v16, v19, v0, 16
	v_alignbit_b32 v0, v0, v19, 16
	v_pk_add_f16 v33, v106, v33
	v_fma_f16 v60, v95, s15, -v60
	v_add_f16_e32 v1, v1, v32
	v_pk_mul_f16 v32, v17, s33
	ds_write2_b32 v61, v0, v16 offset0:6 offset1:7
	v_pack_b32_f16 v0, v64, v28
	v_pack_b32_f16 v16, v35, v29
	v_pk_add_f16 v33, v110, v33
	v_mul_f16_e32 v30, 0xb94e, v17
	ds_write2_b32 v61, v16, v0 offset0:8 offset1:9
	v_pack_b32_f16 v0, v60, v18
	v_bfi_b32 v16, s31, v43, v32
	v_pk_add_f16 v0, v0, v16
	v_bfi_b32 v16, s31, v30, v33
	s_load_dwordx2 s[2:3], s[4:5], 0x8
	v_pk_add_f16 v16, v62, v16 neg_lo:[0,1] neg_hi:[0,1]
	v_pk_add_f16 v17, v22, v33
	v_bfi_b32 v16, s31, v16, v17
	v_pk_add_f16 v0, v16, v0
	v_add_co_u32_e64 v15, s[0:1], 39, v56
	v_alignbit_b32 v16, v40, v0, 16
	v_pack_b32_f16 v0, v34, v0
	ds_write2_b32 v61, v0, v16 offset0:10 offset1:11
	v_pack_b32_f16 v0, v1, v3
	v_mul_u32_u24_e32 v63, 13, v15
	ds_write_b32 v61, v0 offset:48
	s_and_saveexec_b64 s[0:1], vcc
	s_cbranch_execz .LBB0_7
; %bb.6:
	v_lshl_add_u32 v0, v63, 2, v59
	v_alignbit_b32 v16, v2, v38, 16
	v_alignbit_b32 v17, v38, v2, 16
	ds_write2_b32 v0, v17, v16 offset1:1
	v_perm_b32 v16, v79, v8, s34
	v_perm_b32 v17, v78, v7, s34
	ds_write2_b32 v0, v17, v16 offset0:2 offset1:3
	v_perm_b32 v16, v76, v10, s34
	v_perm_b32 v17, v77, v9, s34
	ds_write2_b32 v0, v17, v16 offset0:4 offset1:5
	v_perm_b32 v16, v81, v42, s34
	v_alignbit_b32 v17, v83, v81, 16
	ds_write2_b32 v0, v16, v17 offset0:6 offset1:7
	v_perm_b32 v16, v82, v14, s34
	v_perm_b32 v17, v80, v13, s34
	ds_write2_b32 v0, v17, v16 offset0:8 offset1:9
	v_perm_b32 v16, v85, v12, s34
	v_perm_b32 v17, v84, v11, s34
	ds_write2_b32 v0, v17, v16 offset0:10 offset1:11
	v_bfi_b32 v16, s31, v86, v42
	ds_write_b32 v0, v16 offset:48
.LBB0_7:
	s_or_b64 exec, exec, s[0:1]
	v_add_u32_e32 v0, 0x400, v44
	s_waitcnt lgkmcnt(0)
	s_barrier
	ds_read2_b32 v[27:28], v44 offset1:39
	ds_read2_b32 v[29:30], v44 offset0:182 offset1:221
	ds_read2_b32 v[35:36], v0 offset0:108 offset1:147
	;; [unrolled: 1-line block ×5, first 2 shown]
	v_cmp_gt_u16_e64 s[0:1], 26, v56
	v_lshrrev_b32_e32 v0, 16, v38
	s_and_saveexec_b64 s[4:5], s[0:1]
	s_cbranch_execz .LBB0_9
; %bb.8:
	v_add_u32_e32 v0, 0x200, v44
	ds_read2_b32 v[1:2], v0 offset0:28 offset1:210
	ds_read_b32 v0, v44 offset:2080
	s_waitcnt lgkmcnt(1)
	v_lshrrev_b32_e32 v3, 16, v1
	v_lshrrev_b32_e32 v38, 16, v2
	s_waitcnt lgkmcnt(0)
	v_alignbit_b32 v2, v2, v0, 16
.LBB0_9:
	s_or_b64 exec, exec, s[4:5]
	s_movk_i32 s4, 0x4f
	v_mul_lo_u16_sdwa v18, v15, s4 dst_sel:DWORD dst_unused:UNUSED_PAD src0_sel:BYTE_0 src1_sel:DWORD
	v_lshrrev_b16_e32 v41, 10, v18
	v_mul_lo_u16_sdwa v16, v56, s4 dst_sel:DWORD dst_unused:UNUSED_PAD src0_sel:BYTE_0 src1_sel:DWORD
	v_mul_lo_u16_e32 v18, 13, v41
	v_lshrrev_b16_e32 v39, 10, v16
	v_sub_u16_e32 v43, v15, v18
	v_add_u16_e32 v18, 0x4e, v56
	v_mul_lo_u16_e32 v16, 13, v39
	v_mul_lo_u16_sdwa v19, v18, s4 dst_sel:DWORD dst_unused:UNUSED_PAD src0_sel:BYTE_0 src1_sel:DWORD
	v_sub_u16_e32 v40, v56, v16
	v_mov_b32_e32 v16, 3
	v_lshrrev_b16_e32 v60, 10, v19
	v_lshlrev_b32_sdwa v17, v16, v40 dst_sel:DWORD dst_unused:UNUSED_PAD src0_sel:DWORD src1_sel:BYTE_0
	v_lshlrev_b32_sdwa v15, v16, v43 dst_sel:DWORD dst_unused:UNUSED_PAD src0_sel:DWORD src1_sel:BYTE_0
	v_mul_lo_u16_e32 v19, 13, v60
	v_sub_u16_e32 v64, v18, v19
	global_load_dwordx2 v[19:20], v17, s[2:3]
	global_load_dwordx2 v[23:24], v15, s[2:3]
	v_add_u16_e32 v17, 0x75, v56
	v_mul_lo_u16_sdwa v18, v17, s4 dst_sel:DWORD dst_unused:UNUSED_PAD src0_sel:BYTE_0 src1_sel:DWORD
	v_lshrrev_b16_e32 v68, 10, v18
	v_mul_lo_u16_e32 v15, 13, v68
	v_sub_u16_e32 v69, v17, v15
	v_lshlrev_b32_sdwa v62, v16, v64 dst_sel:DWORD dst_unused:UNUSED_PAD src0_sel:DWORD src1_sel:BYTE_0
	v_lshlrev_b32_sdwa v15, v16, v69 dst_sel:DWORD dst_unused:UNUSED_PAD src0_sel:DWORD src1_sel:BYTE_0
	global_load_dwordx2 v[21:22], v62, s[2:3]
	global_load_dwordx2 v[17:18], v15, s[2:3]
	v_add_u16_e32 v15, 0x9c, v56
	v_mul_lo_u16_sdwa v62, v15, s4 dst_sel:DWORD dst_unused:UNUSED_PAD src0_sel:BYTE_0 src1_sel:DWORD
	v_lshrrev_b16_e32 v70, 10, v62
	v_mul_lo_u16_e32 v62, 13, v70
	v_sub_u16_e32 v62, v15, v62
	v_lshlrev_b32_sdwa v15, v16, v62 dst_sel:DWORD dst_unused:UNUSED_PAD src0_sel:DWORD src1_sel:BYTE_0
	global_load_dwordx2 v[15:16], v15, s[2:3]
	s_waitcnt lgkmcnt(4)
	v_lshrrev_b32_e32 v66, 16, v29
	s_waitcnt lgkmcnt(3)
	v_lshrrev_b32_e32 v67, 16, v35
	v_lshrrev_b32_e32 v72, 16, v30
	;; [unrolled: 1-line block ×4, first 2 shown]
	s_movk_i32 s4, 0x3aee
	s_mov_b32 s5, 0xbaee
	v_lshrrev_b32_e32 v73, 16, v36
	v_lshrrev_b32_e32 v71, 16, v28
	s_waitcnt lgkmcnt(1)
	v_lshrrev_b32_e32 v75, 16, v31
	s_waitcnt lgkmcnt(0)
	v_lshrrev_b32_e32 v87, 16, v33
	v_mul_u32_u24_e32 v39, 39, v39
	v_add_u32_sdwa v39, v39, v40 dst_sel:DWORD dst_unused:UNUSED_PAD src0_sel:DWORD src1_sel:BYTE_0
	v_lshrrev_b32_e32 v74, 16, v25
	v_lshrrev_b32_e32 v89, 16, v32
	s_waitcnt vmcnt(0)
	s_barrier
	v_lshrrev_b32_e32 v90, 16, v34
	v_lshrrev_b32_e32 v88, 16, v26
	v_mul_f16_sdwa v92, v66, v19 dst_sel:DWORD dst_unused:UNUSED_PAD src0_sel:DWORD src1_sel:WORD_1
	v_mul_f16_sdwa v94, v67, v20 dst_sel:DWORD dst_unused:UNUSED_PAD src0_sel:DWORD src1_sel:WORD_1
	;; [unrolled: 1-line block ×4, first 2 shown]
	v_fma_f16 v92, v29, v19, -v92
	v_fma_f16 v35, v35, v20, -v94
	v_mul_f16_sdwa v96, v72, v23 dst_sel:DWORD dst_unused:UNUSED_PAD src0_sel:DWORD src1_sel:WORD_1
	v_fma_f16 v66, v66, v19, v93
	v_fma_f16 v67, v67, v20, v95
	v_mul_f16_sdwa v97, v30, v23 dst_sel:DWORD dst_unused:UNUSED_PAD src0_sel:DWORD src1_sel:WORD_1
	v_fma_f16 v93, v30, v23, -v96
	v_mul_f16_sdwa v98, v73, v24 dst_sel:DWORD dst_unused:UNUSED_PAD src0_sel:DWORD src1_sel:WORD_1
	v_mul_f16_sdwa v99, v36, v24 dst_sel:DWORD dst_unused:UNUSED_PAD src0_sel:DWORD src1_sel:WORD_1
	v_fma_f16 v36, v36, v24, -v98
	v_fma_f16 v72, v72, v23, v97
	v_fma_f16 v73, v73, v24, v99
	v_mul_f16_sdwa v108, v38, v15 dst_sel:DWORD dst_unused:UNUSED_PAD src0_sel:DWORD src1_sel:WORD_1
	v_mul_f16_sdwa v109, v91, v15 dst_sel:DWORD dst_unused:UNUSED_PAD src0_sel:DWORD src1_sel:WORD_1
	v_fma_f16 v29, v91, v15, -v108
	v_add_f16_e32 v91, v92, v35
	v_fma_f16 v30, v38, v15, v109
	v_add_f16_e32 v38, v27, v92
	v_fma_f16 v27, v91, -0.5, v27
	v_sub_f16_e32 v91, v66, v67
	v_fma_f16 v94, v91, s4, v27
	v_fma_f16 v91, v91, s5, v27
	v_add_f16_e32 v27, v65, v66
	v_add_f16_e32 v95, v27, v67
	;; [unrolled: 1-line block ×4, first 2 shown]
	v_fma_f16 v27, v27, -0.5, v65
	v_sub_f16_e32 v35, v92, v35
	v_fma_f16 v66, v35, s5, v27
	v_fma_f16 v35, v35, s4, v27
	v_add_f16_e32 v27, v28, v93
	v_add_f16_e32 v67, v27, v36
	;; [unrolled: 1-line block ×3, first 2 shown]
	v_fma_f16 v27, v27, -0.5, v28
	v_sub_f16_e32 v28, v72, v73
	v_fma_f16 v92, v28, s4, v27
	v_fma_f16 v96, v28, s5, v27
	v_add_f16_e32 v27, v71, v72
	v_mul_f16_sdwa v100, v75, v21 dst_sel:DWORD dst_unused:UNUSED_PAD src0_sel:DWORD src1_sel:WORD_1
	v_add_f16_e32 v97, v27, v73
	v_add_f16_e32 v27, v72, v73
	v_mul_f16_sdwa v101, v31, v21 dst_sel:DWORD dst_unused:UNUSED_PAD src0_sel:DWORD src1_sel:WORD_1
	v_mul_f16_sdwa v102, v87, v22 dst_sel:DWORD dst_unused:UNUSED_PAD src0_sel:DWORD src1_sel:WORD_1
	v_fma_f16 v31, v31, v21, -v100
	v_fma_f16 v27, v27, -0.5, v71
	v_sub_f16_e32 v28, v93, v36
	v_mul_f16_sdwa v103, v33, v22 dst_sel:DWORD dst_unused:UNUSED_PAD src0_sel:DWORD src1_sel:WORD_1
	v_fma_f16 v33, v33, v22, -v102
	v_fma_f16 v36, v28, s5, v27
	v_fma_f16 v71, v28, s4, v27
	v_add_f16_e32 v27, v25, v31
	v_fma_f16 v75, v75, v21, v101
	v_fma_f16 v87, v87, v22, v103
	v_add_f16_e32 v72, v27, v33
	v_add_f16_e32 v27, v31, v33
	v_fma_f16 v25, v27, -0.5, v25
	v_sub_f16_e32 v27, v75, v87
	v_lshl_add_u32 v65, v39, 2, v59
	v_pack_b32_f16 v35, v91, v35
	v_fma_f16 v73, v27, s4, v25
	v_fma_f16 v93, v27, s5, v25
	v_add_f16_e32 v25, v74, v75
	ds_write_b32 v65, v35 offset:104
	v_mul_u32_u24_e32 v35, 39, v41
	v_mul_f16_sdwa v104, v89, v17 dst_sel:DWORD dst_unused:UNUSED_PAD src0_sel:DWORD src1_sel:WORD_1
	v_add_f16_e32 v98, v25, v87
	v_add_f16_e32 v25, v75, v87
	v_add_u32_sdwa v35, v35, v43 dst_sel:DWORD dst_unused:UNUSED_PAD src0_sel:DWORD src1_sel:BYTE_0
	v_mul_f16_sdwa v105, v32, v17 dst_sel:DWORD dst_unused:UNUSED_PAD src0_sel:DWORD src1_sel:WORD_1
	v_mul_f16_sdwa v106, v90, v18 dst_sel:DWORD dst_unused:UNUSED_PAD src0_sel:DWORD src1_sel:WORD_1
	v_fma_f16 v32, v32, v17, -v104
	v_fma_f16 v25, v25, -0.5, v74
	v_sub_f16_e32 v27, v31, v33
	v_pack_b32_f16 v38, v38, v95
	v_pack_b32_f16 v39, v94, v66
	v_lshl_add_u32 v66, v35, 2, v59
	v_pack_b32_f16 v35, v67, v97
	v_pack_b32_f16 v36, v92, v36
	v_mul_f16_sdwa v107, v34, v18 dst_sel:DWORD dst_unused:UNUSED_PAD src0_sel:DWORD src1_sel:WORD_1
	v_fma_f16 v34, v34, v18, -v106
	v_fma_f16 v33, v27, s5, v25
	v_fma_f16 v74, v27, s4, v25
	v_add_f16_e32 v25, v26, v32
	ds_write2_b32 v65, v38, v39 offset1:13
	ds_write2_b32 v66, v35, v36 offset1:13
	v_pack_b32_f16 v35, v96, v71
	v_fma_f16 v89, v89, v17, v105
	v_fma_f16 v90, v90, v18, v107
	v_add_f16_e32 v75, v25, v34
	v_add_f16_e32 v25, v32, v34
	ds_write_b32 v66, v35 offset:104
	v_mul_u32_u24_e32 v35, 39, v60
	v_fma_f16 v25, v25, -0.5, v26
	v_sub_f16_e32 v26, v89, v90
	v_add_u32_sdwa v35, v35, v64 dst_sel:DWORD dst_unused:UNUSED_PAD src0_sel:DWORD src1_sel:BYTE_0
	v_fma_f16 v87, v26, s4, v25
	v_fma_f16 v99, v26, s5, v25
	v_add_f16_e32 v25, v88, v89
	v_lshl_add_u32 v67, v35, 2, v59
	v_pack_b32_f16 v35, v72, v98
	v_pack_b32_f16 v33, v73, v33
	v_mul_f16_sdwa v110, v2, v16 dst_sel:DWORD dst_unused:UNUSED_PAD src0_sel:DWORD src1_sel:WORD_1
	v_mul_f16_sdwa v111, v0, v16 dst_sel:DWORD dst_unused:UNUSED_PAD src0_sel:DWORD src1_sel:WORD_1
	v_add_f16_e32 v100, v25, v90
	v_add_f16_e32 v25, v89, v90
	ds_write2_b32 v67, v35, v33 offset1:13
	v_pack_b32_f16 v33, v93, v74
	v_fma_f16 v0, v0, v16, -v110
	v_fma_f16 v2, v2, v16, v111
	v_fma_f16 v25, v25, -0.5, v88
	v_sub_f16_e32 v26, v32, v34
	ds_write_b32 v67, v33 offset:104
	v_mul_u32_u24_e32 v33, 39, v68
	v_fma_f16 v32, v26, s5, v25
	v_fma_f16 v34, v26, s4, v25
	v_add_f16_e32 v25, v29, v0
	v_add_f16_e32 v27, v30, v2
	v_add_u32_sdwa v33, v33, v69 dst_sel:DWORD dst_unused:UNUSED_PAD src0_sel:DWORD src1_sel:BYTE_0
	v_fma_f16 v25, v25, -0.5, v1
	v_sub_f16_e32 v26, v30, v2
	v_fma_f16 v27, v27, -0.5, v3
	v_sub_f16_e32 v31, v29, v0
	v_lshl_add_u32 v68, v33, 2, v59
	v_pack_b32_f16 v33, v75, v100
	v_pack_b32_f16 v32, v87, v32
	v_fma_f16 v28, v26, s5, v25
	v_fma_f16 v88, v31, s4, v27
	ds_write2_b32 v68, v33, v32 offset1:13
	v_pack_b32_f16 v32, v99, v34
	v_mul_u32_u24_e32 v64, 39, v70
	ds_write_b32 v68, v32 offset:104
	s_and_saveexec_b64 s[4:5], s[0:1]
	s_cbranch_execz .LBB0_11
; %bb.10:
	v_mul_f16_e32 v26, 0x3aee, v26
	v_mul_f16_e32 v31, 0x3aee, v31
	v_add_f16_e32 v3, v3, v30
	v_add_f16_e32 v1, v1, v29
	v_sub_f16_e32 v27, v27, v31
	v_add_f16_e32 v25, v26, v25
	v_add_f16_e32 v2, v3, v2
	;; [unrolled: 1-line block ×3, first 2 shown]
	v_add_u32_sdwa v1, v64, v62 dst_sel:DWORD dst_unused:UNUSED_PAD src0_sel:DWORD src1_sel:BYTE_0
	v_lshl_add_u32 v1, v1, 2, v59
	v_pack_b32_f16 v0, v0, v2
	v_pack_b32_f16 v2, v25, v27
	s_mov_b32 s14, 0x5040100
	ds_write2_b32 v1, v0, v2 offset1:13
	v_perm_b32 v0, v88, v28, s14
	ds_write_b32 v1, v0 offset:104
.LBB0_11:
	s_or_b64 exec, exec, s[4:5]
	v_mad_u64_u32 v[30:31], s[2:3], v56, 24, s[2:3]
	s_waitcnt lgkmcnt(0)
	s_barrier
	global_load_dwordx4 v[0:3], v[30:31], off offset:104
	global_load_dwordx2 v[25:26], v[30:31], off offset:120
	v_add_u32_e32 v32, 0x200, v44
	ds_read2_b32 v[33:34], v44 offset1:39
	ds_read2_b32 v[35:36], v44 offset0:78 offset1:117
	ds_read2_b32 v[38:39], v44 offset0:156 offset1:195
	v_add_u32_e32 v29, 0x400, v44
	ds_read2_b32 v[40:41], v32 offset0:106 offset1:145
	ds_read2_b32 v[69:70], v29 offset0:56 offset1:95
	;; [unrolled: 1-line block ×4, first 2 shown]
	s_movk_i32 s2, 0x2b26
	s_waitcnt lgkmcnt(5)
	v_lshrrev_b32_e32 v27, 16, v35
	s_waitcnt lgkmcnt(4)
	v_lshrrev_b32_e32 v43, 16, v38
	s_waitcnt lgkmcnt(1)
	v_lshrrev_b32_e32 v90, 16, v71
	s_waitcnt lgkmcnt(0)
	v_lshrrev_b32_e32 v91, 16, v73
	v_lshrrev_b32_e32 v87, 16, v40
	v_lshrrev_b32_e32 v89, 16, v69
	;; [unrolled: 1-line block ×6, first 2 shown]
	s_movk_i32 s3, 0x3b00
	s_mov_b32 s4, 0xbcab
	s_movk_i32 s5, 0x39e0
	s_mov_b32 s14, 0xb9e0
	;; [unrolled: 2-line block ×3, first 2 shown]
	v_lshrrev_b32_e32 v92, 16, v41
	v_lshrrev_b32_e32 v93, 16, v70
	s_movk_i32 s17, 0x370e
	s_waitcnt vmcnt(0)
	s_barrier
	v_mul_f16_sdwa v96, v27, v0 dst_sel:DWORD dst_unused:UNUSED_PAD src0_sel:DWORD src1_sel:WORD_1
	v_mul_f16_sdwa v97, v35, v0 dst_sel:DWORD dst_unused:UNUSED_PAD src0_sel:DWORD src1_sel:WORD_1
	;; [unrolled: 1-line block ×12, first 2 shown]
	v_fma_f16 v35, v35, v0, -v96
	v_fma_f16 v27, v27, v0, v97
	v_fma_f16 v38, v38, v1, -v98
	v_fma_f16 v43, v43, v1, v99
	;; [unrolled: 2-line block ×6, first 2 shown]
	v_add_f16_e32 v96, v35, v73
	v_add_f16_e32 v97, v27, v91
	v_sub_f16_e32 v35, v35, v73
	v_sub_f16_e32 v27, v27, v91
	v_add_f16_e32 v73, v38, v71
	v_add_f16_e32 v91, v43, v90
	v_sub_f16_e32 v38, v38, v71
	v_sub_f16_e32 v43, v43, v90
	;; [unrolled: 4-line block ×4, first 2 shown]
	v_sub_f16_e32 v96, v96, v71
	v_sub_f16_e32 v97, v97, v90
	;; [unrolled: 1-line block ×4, first 2 shown]
	v_add_f16_e32 v100, v40, v38
	v_add_f16_e32 v101, v69, v43
	v_sub_f16_e32 v102, v40, v38
	v_sub_f16_e32 v103, v69, v43
	;; [unrolled: 1-line block ×4, first 2 shown]
	v_add_f16_e32 v71, v71, v87
	v_add_f16_e32 v87, v90, v89
	v_sub_f16_e32 v40, v35, v40
	v_sub_f16_e32 v69, v27, v69
	v_add_f16_e32 v35, v100, v35
	v_add_f16_e32 v27, v101, v27
	v_add_f16_e32 v89, v33, v71
	v_add_f16_sdwa v33, v33, v87 dst_sel:DWORD dst_unused:UNUSED_PAD src0_sel:WORD_1 src1_sel:DWORD
	v_mul_f16_e32 v90, 0x3a52, v96
	v_mul_f16_e32 v96, 0x3a52, v97
	;; [unrolled: 1-line block ×8, first 2 shown]
	v_mul_f16_sdwa v108, v60, v0 dst_sel:DWORD dst_unused:UNUSED_PAD src0_sel:DWORD src1_sel:WORD_1
	v_mul_f16_sdwa v109, v36, v0 dst_sel:DWORD dst_unused:UNUSED_PAD src0_sel:DWORD src1_sel:WORD_1
	;; [unrolled: 1-line block ×8, first 2 shown]
	v_fma_f16 v71, v71, s4, v89
	v_fma_f16 v87, v87, s4, v33
	;; [unrolled: 1-line block ×4, first 2 shown]
	v_fma_f16 v97, v98, s5, -v97
	v_fma_f16 v100, v99, s5, -v100
	;; [unrolled: 1-line block ×4, first 2 shown]
	v_fma_f16 v98, v40, s15, v101
	v_fma_f16 v99, v69, s15, v102
	v_fma_f16 v38, v38, s3, -v101
	v_fma_f16 v43, v43, s3, -v102
	v_fma_f16 v40, v40, s16, -v103
	v_fma_f16 v69, v69, s16, -v104
	v_mul_f16_sdwa v112, v92, v2 dst_sel:DWORD dst_unused:UNUSED_PAD src0_sel:DWORD src1_sel:WORD_1
	v_mul_f16_sdwa v113, v41, v2 dst_sel:DWORD dst_unused:UNUSED_PAD src0_sel:DWORD src1_sel:WORD_1
	;; [unrolled: 1-line block ×4, first 2 shown]
	v_fma_f16 v36, v36, v0, -v108
	v_fma_f16 v60, v60, v0, v109
	v_fma_f16 v39, v39, v1, -v110
	v_fma_f16 v75, v75, v1, v111
	;; [unrolled: 2-line block ×4, first 2 shown]
	v_add_f16_e32 v73, v73, v71
	v_add_f16_e32 v91, v91, v87
	;; [unrolled: 1-line block ×6, first 2 shown]
	v_fma_f16 v90, v35, s17, v98
	v_fma_f16 v96, v27, s17, v99
	;; [unrolled: 1-line block ×6, first 2 shown]
	v_fma_f16 v41, v41, v2, -v112
	v_fma_f16 v92, v92, v2, v113
	v_fma_f16 v70, v70, v3, -v114
	v_fma_f16 v93, v93, v3, v115
	v_add_f16_e32 v40, v96, v73
	v_sub_f16_e32 v69, v91, v90
	v_add_f16_e32 v98, v27, v71
	v_sub_f16_e32 v99, v87, v35
	v_sub_f16_e32 v27, v71, v27
	v_add_f16_e32 v35, v35, v87
	v_sub_f16_e32 v71, v73, v96
	v_add_f16_e32 v73, v90, v91
	v_add_f16_e32 v87, v36, v74
	;; [unrolled: 1-line block ×3, first 2 shown]
	v_sub_f16_e32 v36, v36, v74
	v_add_f16_e32 v74, v39, v72
	v_add_f16_e32 v91, v75, v94
	v_sub_f16_e32 v60, v60, v95
	v_sub_f16_e32 v39, v39, v72
	;; [unrolled: 1-line block ×3, first 2 shown]
	v_add_f16_e32 v75, v41, v70
	v_add_f16_e32 v94, v92, v93
	v_sub_f16_e32 v41, v70, v41
	v_sub_f16_e32 v70, v93, v92
	v_add_f16_e32 v92, v74, v87
	v_add_f16_e32 v93, v91, v90
	v_sub_f16_e32 v101, v97, v43
	v_add_f16_e32 v102, v38, v100
	v_add_f16_e32 v43, v43, v97
	v_sub_f16_e32 v38, v100, v38
	v_sub_f16_e32 v95, v74, v87
	;; [unrolled: 1-line block ×7, first 2 shown]
	v_add_f16_e32 v97, v41, v39
	v_add_f16_e32 v100, v70, v72
	v_sub_f16_e32 v103, v41, v39
	v_sub_f16_e32 v104, v70, v72
	;; [unrolled: 1-line block ×4, first 2 shown]
	v_add_f16_e32 v75, v75, v92
	v_add_f16_e32 v92, v94, v93
	v_sub_f16_e32 v41, v36, v41
	v_sub_f16_e32 v70, v60, v70
	v_add_f16_e32 v36, v97, v36
	v_add_f16_e32 v60, v100, v60
	;; [unrolled: 1-line block ×3, first 2 shown]
	v_add_f16_sdwa v34, v34, v92 dst_sel:DWORD dst_unused:UNUSED_PAD src0_sel:WORD_1 src1_sel:DWORD
	v_mul_f16_e32 v87, 0x3a52, v87
	v_mul_f16_e32 v90, 0x3a52, v90
	;; [unrolled: 1-line block ×8, first 2 shown]
	v_pack_b32_f16 v33, v89, v33
	v_pack_b32_f16 v40, v40, v69
	v_fma_f16 v75, v75, s4, v93
	v_fma_f16 v92, v92, s4, v34
	;; [unrolled: 1-line block ×4, first 2 shown]
	v_fma_f16 v94, v95, s5, -v94
	v_fma_f16 v97, v96, s5, -v97
	v_fma_f16 v87, v95, s14, -v87
	v_fma_f16 v90, v96, s14, -v90
	v_fma_f16 v95, v41, s15, v100
	v_fma_f16 v96, v70, s15, v103
	v_fma_f16 v39, v39, s3, -v100
	v_fma_f16 v41, v41, s16, -v104
	;; [unrolled: 1-line block ×3, first 2 shown]
	ds_write2_b32 v44, v33, v40 offset1:39
	v_pack_b32_f16 v33, v98, v99
	v_pack_b32_f16 v40, v101, v102
	v_fma_f16 v72, v72, s3, -v103
	v_add_f16_e32 v74, v74, v75
	v_add_f16_e32 v91, v91, v92
	;; [unrolled: 1-line block ×6, first 2 shown]
	v_fma_f16 v90, v36, s17, v95
	v_fma_f16 v92, v60, s17, v96
	;; [unrolled: 1-line block ×5, first 2 shown]
	ds_write2_b32 v44, v33, v40 offset0:78 offset1:117
	v_pack_b32_f16 v33, v43, v38
	v_pack_b32_f16 v27, v27, v35
	v_fma_f16 v72, v60, s17, v72
	v_add_f16_e32 v60, v92, v74
	v_sub_f16_e32 v70, v91, v90
	v_add_f16_e32 v95, v41, v75
	v_sub_f16_e32 v96, v87, v36
	ds_write2_b32 v44, v33, v27 offset0:156 offset1:195
	v_pack_b32_f16 v27, v71, v73
	v_pack_b32_f16 v33, v93, v34
	v_sub_f16_e32 v100, v94, v72
	v_add_f16_e32 v103, v39, v97
	v_add_f16_e32 v72, v72, v94
	v_sub_f16_e32 v39, v97, v39
	ds_write2_b32 v32, v27, v33 offset0:106 offset1:145
	v_pack_b32_f16 v27, v60, v70
	v_pack_b32_f16 v33, v95, v96
	v_sub_f16_e32 v41, v75, v41
	v_add_f16_e32 v36, v36, v87
	v_sub_f16_e32 v74, v74, v92
	v_add_f16_e32 v75, v90, v91
	ds_write2_b32 v29, v27, v33 offset0:56 offset1:95
	v_pack_b32_f16 v27, v100, v103
	v_pack_b32_f16 v33, v72, v39
	ds_write2_b32 v29, v27, v33 offset0:134 offset1:173
	v_pack_b32_f16 v27, v41, v36
	v_pack_b32_f16 v33, v74, v75
	ds_write2_b32 v29, v27, v33 offset0:212 offset1:251
	v_mul_i32_i24_e32 v33, 0xffffffec, v56
	v_mul_hi_i32_i24_e32 v27, 0xffffffec, v56
	v_add_co_u32_e64 v30, s[2:3], v30, v33
	v_addc_co_u32_e64 v31, s[2:3], v31, v27, s[2:3]
	s_waitcnt lgkmcnt(0)
	s_barrier
	global_load_dword v69, v[30:31], off offset:1040
	global_load_dword v70, v[30:31], off offset:1196
	;; [unrolled: 1-line block ×7, first 2 shown]
	ds_read2_b32 v[30:31], v44 offset1:39
	ds_read2_b32 v[33:34], v32 offset0:106 offset1:145
	ds_read2_b32 v[35:36], v29 offset0:56 offset1:95
	;; [unrolled: 1-line block ×6, first 2 shown]
	s_waitcnt lgkmcnt(5)
	v_lshrrev_b32_e32 v43, 16, v34
	s_waitcnt lgkmcnt(4)
	v_lshrrev_b32_e32 v87, 16, v35
	v_lshrrev_b32_e32 v94, 16, v36
	s_waitcnt lgkmcnt(2)
	v_lshrrev_b32_e32 v96, 16, v40
	;; [unrolled: 3-line block ×3, first 2 shown]
	v_lshrrev_b32_e32 v102, 16, v92
	v_lshrrev_b32_e32 v27, 16, v30
	;; [unrolled: 1-line block ×8, first 2 shown]
	s_add_u32 s2, s12, 0x888
	s_addc_u32 s3, s13, 0
	s_waitcnt vmcnt(6)
	v_mul_f16_sdwa v103, v43, v69 dst_sel:DWORD dst_unused:UNUSED_PAD src0_sel:DWORD src1_sel:WORD_1
	v_fma_f16 v103, v34, v69, -v103
	v_mul_f16_sdwa v34, v34, v69 dst_sel:DWORD dst_unused:UNUSED_PAD src0_sel:DWORD src1_sel:WORD_1
	v_fma_f16 v34, v43, v69, v34
	s_waitcnt vmcnt(5)
	v_mul_f16_sdwa v43, v87, v70 dst_sel:DWORD dst_unused:UNUSED_PAD src0_sel:DWORD src1_sel:WORD_1
	v_fma_f16 v43, v35, v70, -v43
	v_mul_f16_sdwa v35, v35, v70 dst_sel:DWORD dst_unused:UNUSED_PAD src0_sel:DWORD src1_sel:WORD_1
	v_fma_f16 v35, v87, v70, v35
	;; [unrolled: 5-line block ×7, first 2 shown]
	v_sub_f16_e32 v102, v30, v103
	v_sub_f16_e32 v34, v27, v34
	v_fma_f16 v30, v30, 2.0, -v102
	v_fma_f16 v103, v27, 2.0, -v34
	v_sub_f16_e32 v35, v60, v35
	v_sub_f16_e32 v43, v31, v43
	v_fma_f16 v104, v60, 2.0, -v35
	v_sub_f16_e32 v105, v38, v87
	v_sub_f16_e32 v36, v93, v36
	v_pack_b32_f16 v30, v30, v103
	v_lshl_add_u32 v60, v56, 2, v59
	v_fma_f16 v31, v31, 2.0, -v43
	v_fma_f16 v38, v38, 2.0, -v105
	;; [unrolled: 1-line block ×3, first 2 shown]
	ds_write_b32 v44, v30
	v_pack_b32_f16 v30, v102, v34
	v_pack_b32_f16 v34, v43, v35
	v_add_u32_e32 v35, 0x400, v60
	v_sub_f16_e32 v94, v39, v94
	v_sub_f16_e32 v40, v95, v40
	v_sub_f16_e32 v96, v89, v96
	v_sub_f16_e32 v41, v97, v41
	v_pack_b32_f16 v31, v31, v104
	ds_write2_b32 v35, v30, v34 offset0:17 offset1:56
	v_pack_b32_f16 v30, v38, v93
	v_fma_f16 v39, v39, 2.0, -v94
	v_fma_f16 v95, v95, 2.0, -v40
	;; [unrolled: 1-line block ×4, first 2 shown]
	ds_write2_b32 v60, v31, v30 offset0:39 offset1:78
	v_pack_b32_f16 v30, v105, v36
	v_pack_b32_f16 v34, v94, v40
	v_sub_f16_e32 v98, v90, v98
	v_sub_f16_e32 v91, v99, v91
	v_pack_b32_f16 v31, v39, v95
	ds_write2_b32 v35, v30, v34 offset0:95 offset1:134
	v_pack_b32_f16 v30, v89, v97
	v_fma_f16 v90, v90, 2.0, -v98
	v_fma_f16 v99, v99, 2.0, -v91
	ds_write2_b32 v60, v31, v30 offset0:117 offset1:156
	v_pack_b32_f16 v30, v96, v41
	v_sub_f16_e32 v27, v33, v100
	v_sub_f16_e32 v87, v101, v92
	ds_write_b32 v60, v30 offset:1716
	v_pack_b32_f16 v30, v90, v99
	v_fma_f16 v33, v33, 2.0, -v27
	v_fma_f16 v92, v101, 2.0, -v87
	ds_write_b32 v60, v30 offset:780
	v_pack_b32_f16 v30, v98, v91
	ds_write_b32 v44, v30 offset:1872
	v_pack_b32_f16 v30, v33, v92
	;; [unrolled: 2-line block ×3, first 2 shown]
	ds_write_b32 v44, v30 offset:2028
	s_waitcnt lgkmcnt(0)
	s_barrier
	global_load_dword v33, v[4:5], off offset:2184
	global_load_dword v35, v37, s[2:3] offset:168
	global_load_dword v36, v37, s[2:3] offset:336
	;; [unrolled: 1-line block ×10, first 2 shown]
	ds_read2_b32 v[30:31], v44 offset1:42
	global_load_dword v92, v37, s[2:3] offset:1848
	s_waitcnt lgkmcnt(0)
	v_lshrrev_b32_e32 v34, 16, v30
	v_lshrrev_b32_e32 v94, 16, v31
	s_waitcnt vmcnt(11)
	v_mul_f16_sdwa v93, v34, v33 dst_sel:DWORD dst_unused:UNUSED_PAD src0_sel:DWORD src1_sel:WORD_1
	v_fma_f16 v93, v30, v33, -v93
	v_mul_f16_sdwa v30, v30, v33 dst_sel:DWORD dst_unused:UNUSED_PAD src0_sel:DWORD src1_sel:WORD_1
	v_fma_f16 v30, v34, v33, v30
	v_pack_b32_f16 v30, v93, v30
	global_load_dword v93, v37, s[2:3] offset:2016
	s_waitcnt vmcnt(11)
	v_mul_f16_sdwa v33, v94, v35 dst_sel:DWORD dst_unused:UNUSED_PAD src0_sel:DWORD src1_sel:WORD_1
	v_fma_f16 v95, v31, v35, -v33
	ds_read2_b32 v[33:34], v44 offset0:84 offset1:126
	v_mul_f16_sdwa v31, v31, v35 dst_sel:DWORD dst_unused:UNUSED_PAD src0_sel:DWORD src1_sel:WORD_1
	v_fma_f16 v31, v94, v35, v31
	v_pack_b32_f16 v31, v95, v31
	ds_write2_b32 v44, v30, v31 offset1:42
	s_waitcnt lgkmcnt(1)
	v_lshrrev_b32_e32 v30, 16, v33
	s_waitcnt vmcnt(10)
	v_mul_f16_sdwa v31, v30, v36 dst_sel:DWORD dst_unused:UNUSED_PAD src0_sel:DWORD src1_sel:WORD_1
	v_fma_f16 v31, v33, v36, -v31
	v_mul_f16_sdwa v33, v33, v36 dst_sel:DWORD dst_unused:UNUSED_PAD src0_sel:DWORD src1_sel:WORD_1
	v_fma_f16 v30, v30, v36, v33
	v_lshrrev_b32_e32 v35, 16, v34
	v_pack_b32_f16 v33, v31, v30
	s_waitcnt vmcnt(9)
	v_mul_f16_sdwa v30, v35, v38 dst_sel:DWORD dst_unused:UNUSED_PAD src0_sel:DWORD src1_sel:WORD_1
	v_fma_f16 v36, v34, v38, -v30
	ds_read2_b32 v[30:31], v44 offset0:168 offset1:210
	v_mul_f16_sdwa v34, v34, v38 dst_sel:DWORD dst_unused:UNUSED_PAD src0_sel:DWORD src1_sel:WORD_1
	v_fma_f16 v34, v35, v38, v34
	v_pack_b32_f16 v34, v36, v34
	ds_write2_b32 v44, v33, v34 offset0:84 offset1:126
	s_waitcnt lgkmcnt(1)
	v_lshrrev_b32_e32 v33, 16, v30
	s_waitcnt vmcnt(8)
	v_mul_f16_sdwa v34, v33, v39 dst_sel:DWORD dst_unused:UNUSED_PAD src0_sel:DWORD src1_sel:WORD_1
	v_fma_f16 v34, v30, v39, -v34
	v_mul_f16_sdwa v30, v30, v39 dst_sel:DWORD dst_unused:UNUSED_PAD src0_sel:DWORD src1_sel:WORD_1
	v_lshrrev_b32_e32 v35, 16, v31
	v_fma_f16 v30, v33, v39, v30
	s_waitcnt vmcnt(7)
	v_mul_f16_sdwa v33, v35, v40 dst_sel:DWORD dst_unused:UNUSED_PAD src0_sel:DWORD src1_sel:WORD_1
	v_pack_b32_f16 v30, v34, v30
	v_fma_f16 v36, v31, v40, -v33
	ds_read2_b32 v[33:34], v32 offset0:124 offset1:166
	v_mul_f16_sdwa v31, v31, v40 dst_sel:DWORD dst_unused:UNUSED_PAD src0_sel:DWORD src1_sel:WORD_1
	v_fma_f16 v31, v35, v40, v31
	v_pack_b32_f16 v31, v36, v31
	ds_write2_b32 v44, v30, v31 offset0:168 offset1:210
	s_waitcnt lgkmcnt(1)
	v_lshrrev_b32_e32 v30, 16, v33
	s_waitcnt vmcnt(6)
	v_mul_f16_sdwa v31, v30, v41 dst_sel:DWORD dst_unused:UNUSED_PAD src0_sel:DWORD src1_sel:WORD_1
	v_fma_f16 v31, v33, v41, -v31
	v_mul_f16_sdwa v33, v33, v41 dst_sel:DWORD dst_unused:UNUSED_PAD src0_sel:DWORD src1_sel:WORD_1
	v_fma_f16 v30, v30, v41, v33
	v_lshrrev_b32_e32 v35, 16, v34
	v_pack_b32_f16 v33, v31, v30
	s_waitcnt vmcnt(5)
	v_mul_f16_sdwa v30, v35, v43 dst_sel:DWORD dst_unused:UNUSED_PAD src0_sel:DWORD src1_sel:WORD_1
	v_fma_f16 v36, v34, v43, -v30
	ds_read2_b32 v[30:31], v29 offset0:80 offset1:122
	v_mul_f16_sdwa v34, v34, v43 dst_sel:DWORD dst_unused:UNUSED_PAD src0_sel:DWORD src1_sel:WORD_1
	v_fma_f16 v34, v35, v43, v34
	v_pack_b32_f16 v34, v36, v34
	ds_write2_b32 v32, v33, v34 offset0:124 offset1:166
	s_waitcnt lgkmcnt(1)
	v_lshrrev_b32_e32 v33, 16, v30
	s_waitcnt vmcnt(4)
	v_mul_f16_sdwa v34, v33, v89 dst_sel:DWORD dst_unused:UNUSED_PAD src0_sel:DWORD src1_sel:WORD_1
	v_fma_f16 v34, v30, v89, -v34
	v_mul_f16_sdwa v30, v30, v89 dst_sel:DWORD dst_unused:UNUSED_PAD src0_sel:DWORD src1_sel:WORD_1
	v_lshrrev_b32_e32 v35, 16, v31
	v_fma_f16 v30, v33, v89, v30
	s_waitcnt vmcnt(3)
	v_mul_f16_sdwa v33, v35, v90 dst_sel:DWORD dst_unused:UNUSED_PAD src0_sel:DWORD src1_sel:WORD_1
	v_pack_b32_f16 v30, v34, v30
	v_fma_f16 v36, v31, v90, -v33
	ds_read2_b32 v[33:34], v29 offset0:164 offset1:206
	v_mul_f16_sdwa v31, v31, v90 dst_sel:DWORD dst_unused:UNUSED_PAD src0_sel:DWORD src1_sel:WORD_1
	v_fma_f16 v31, v35, v90, v31
	v_pack_b32_f16 v31, v36, v31
	ds_write2_b32 v29, v30, v31 offset0:80 offset1:122
	s_waitcnt lgkmcnt(1)
	v_lshrrev_b32_e32 v30, 16, v33
	s_waitcnt vmcnt(2)
	v_mul_f16_sdwa v31, v30, v91 dst_sel:DWORD dst_unused:UNUSED_PAD src0_sel:DWORD src1_sel:WORD_1
	v_fma_f16 v31, v33, v91, -v31
	v_mul_f16_sdwa v33, v33, v91 dst_sel:DWORD dst_unused:UNUSED_PAD src0_sel:DWORD src1_sel:WORD_1
	v_fma_f16 v30, v30, v91, v33
	v_pack_b32_f16 v30, v31, v30
	v_lshrrev_b32_e32 v31, 16, v34
	ds_read_b32 v35, v44 offset:2016
	s_waitcnt vmcnt(1)
	v_mul_f16_sdwa v33, v31, v92 dst_sel:DWORD dst_unused:UNUSED_PAD src0_sel:DWORD src1_sel:WORD_1
	v_fma_f16 v33, v34, v92, -v33
	v_mul_f16_sdwa v34, v34, v92 dst_sel:DWORD dst_unused:UNUSED_PAD src0_sel:DWORD src1_sel:WORD_1
	v_fma_f16 v31, v31, v92, v34
	v_pack_b32_f16 v31, v33, v31
	ds_write2_b32 v29, v30, v31 offset0:164 offset1:206
	s_waitcnt lgkmcnt(1)
	v_lshrrev_b32_e32 v30, 16, v35
	s_waitcnt vmcnt(0)
	v_mul_f16_sdwa v31, v30, v93 dst_sel:DWORD dst_unused:UNUSED_PAD src0_sel:DWORD src1_sel:WORD_1
	v_mul_f16_sdwa v33, v35, v93 dst_sel:DWORD dst_unused:UNUSED_PAD src0_sel:DWORD src1_sel:WORD_1
	v_fma_f16 v31, v35, v93, -v31
	v_fma_f16 v30, v30, v93, v33
	v_pack_b32_f16 v30, v31, v30
	ds_write_b32 v44, v30 offset:2016
	s_and_saveexec_b64 s[4:5], vcc
	s_cbranch_execz .LBB0_13
; %bb.12:
	v_mov_b32_e32 v31, s3
	v_add_co_u32_e64 v30, s[2:3], s2, v37
	v_addc_co_u32_e64 v31, s[2:3], 0, v31, s[2:3]
	global_load_dword v33, v[30:31], off offset:156
	global_load_dword v41, v[30:31], off offset:324
	global_load_dword v43, v[30:31], off offset:492
	global_load_dword v91, v[30:31], off offset:660
	global_load_dword v92, v[30:31], off offset:828
	global_load_dword v93, v[30:31], off offset:996
	global_load_dword v94, v[30:31], off offset:1164
	global_load_dword v95, v[30:31], off offset:1332
	global_load_dword v96, v[30:31], off offset:1500
	global_load_dword v97, v[30:31], off offset:1668
	global_load_dword v98, v[30:31], off offset:1836
	ds_read_b32 v34, v60 offset:156
	global_load_dword v100, v[30:31], off offset:2004
	global_load_dword v101, v[30:31], off offset:2172
	v_add_u32_e32 v99, 0x600, v44
	s_waitcnt lgkmcnt(0)
	v_lshrrev_b32_e32 v30, 16, v34
	s_waitcnt vmcnt(12)
	v_mul_f16_sdwa v31, v30, v33 dst_sel:DWORD dst_unused:UNUSED_PAD src0_sel:DWORD src1_sel:WORD_1
	v_mul_f16_sdwa v35, v34, v33 dst_sel:DWORD dst_unused:UNUSED_PAD src0_sel:DWORD src1_sel:WORD_1
	v_fma_f16 v31, v34, v33, -v31
	v_fma_f16 v30, v30, v33, v35
	v_pack_b32_f16 v30, v31, v30
	ds_write_b32 v60, v30 offset:156
	ds_read2_b32 v[30:31], v44 offset0:81 offset1:123
	ds_read2_b32 v[33:34], v44 offset0:165 offset1:207
	;; [unrolled: 1-line block ×6, first 2 shown]
	s_waitcnt lgkmcnt(5)
	v_lshrrev_b32_e32 v102, 16, v30
	s_waitcnt vmcnt(11)
	v_mul_f16_sdwa v103, v30, v41 dst_sel:DWORD dst_unused:UNUSED_PAD src0_sel:DWORD src1_sel:WORD_1
	v_lshrrev_b32_e32 v104, 16, v31
	s_waitcnt vmcnt(10)
	v_mul_f16_sdwa v105, v31, v43 dst_sel:DWORD dst_unused:UNUSED_PAD src0_sel:DWORD src1_sel:WORD_1
	s_waitcnt lgkmcnt(4)
	v_lshrrev_b32_e32 v106, 16, v33
	s_waitcnt vmcnt(9)
	v_mul_f16_sdwa v107, v33, v91 dst_sel:DWORD dst_unused:UNUSED_PAD src0_sel:DWORD src1_sel:WORD_1
	v_lshrrev_b32_e32 v108, 16, v34
	s_waitcnt vmcnt(8)
	v_mul_f16_sdwa v109, v34, v92 dst_sel:DWORD dst_unused:UNUSED_PAD src0_sel:DWORD src1_sel:WORD_1
	;; [unrolled: 7-line block ×4, first 2 shown]
	s_waitcnt lgkmcnt(1)
	v_lshrrev_b32_e32 v118, 16, v39
	s_waitcnt vmcnt(3)
	v_mul_f16_sdwa v119, v39, v97 dst_sel:DWORD dst_unused:UNUSED_PAD src0_sel:DWORD src1_sel:WORD_1
	v_lshrrev_b32_e32 v120, 16, v40
	v_mul_f16_sdwa v122, v102, v41 dst_sel:DWORD dst_unused:UNUSED_PAD src0_sel:DWORD src1_sel:WORD_1
	v_fma_f16 v102, v102, v41, v103
	v_mul_f16_sdwa v103, v104, v43 dst_sel:DWORD dst_unused:UNUSED_PAD src0_sel:DWORD src1_sel:WORD_1
	s_waitcnt vmcnt(2)
	v_mul_f16_sdwa v121, v40, v98 dst_sel:DWORD dst_unused:UNUSED_PAD src0_sel:DWORD src1_sel:WORD_1
	v_fma_f16 v104, v104, v43, v105
	v_mul_f16_sdwa v105, v106, v91 dst_sel:DWORD dst_unused:UNUSED_PAD src0_sel:DWORD src1_sel:WORD_1
	v_fma_f16 v106, v106, v91, v107
	;; [unrolled: 2-line block ×8, first 2 shown]
	v_mul_f16_sdwa v119, v120, v98 dst_sel:DWORD dst_unused:UNUSED_PAD src0_sel:DWORD src1_sel:WORD_1
	v_fma_f16 v30, v30, v41, -v122
	v_fma_f16 v31, v31, v43, -v103
	v_fma_f16 v120, v120, v98, v121
	v_fma_f16 v33, v33, v91, -v105
	v_fma_f16 v34, v34, v92, -v107
	;; [unrolled: 1-line block ×8, first 2 shown]
	v_pack_b32_f16 v30, v30, v102
	v_pack_b32_f16 v31, v31, v104
	;; [unrolled: 1-line block ×9, first 2 shown]
	ds_write2_b32 v44, v30, v31 offset0:81 offset1:123
	ds_write2_b32 v44, v33, v34 offset0:165 offset1:207
	;; [unrolled: 1-line block ×4, first 2 shown]
	v_pack_b32_f16 v30, v40, v120
	ds_write2_b32 v29, v39, v30 offset0:161 offset1:203
	s_waitcnt lgkmcnt(5)
	v_lshrrev_b32_e32 v30, 16, v89
	s_waitcnt vmcnt(1)
	v_mul_f16_sdwa v31, v30, v100 dst_sel:DWORD dst_unused:UNUSED_PAD src0_sel:DWORD src1_sel:WORD_1
	v_mul_f16_sdwa v33, v89, v100 dst_sel:DWORD dst_unused:UNUSED_PAD src0_sel:DWORD src1_sel:WORD_1
	v_fma_f16 v31, v89, v100, -v31
	v_fma_f16 v30, v30, v100, v33
	v_pack_b32_f16 v30, v31, v30
	v_lshrrev_b32_e32 v31, 16, v90
	s_waitcnt vmcnt(0)
	v_mul_f16_sdwa v33, v31, v101 dst_sel:DWORD dst_unused:UNUSED_PAD src0_sel:DWORD src1_sel:WORD_1
	v_mul_f16_sdwa v34, v90, v101 dst_sel:DWORD dst_unused:UNUSED_PAD src0_sel:DWORD src1_sel:WORD_1
	v_fma_f16 v33, v90, v101, -v33
	v_fma_f16 v31, v31, v101, v34
	v_pack_b32_f16 v31, v33, v31
	ds_write2_b32 v99, v30, v31 offset0:117 offset1:159
.LBB0_13:
	s_or_b64 exec, exec, s[4:5]
	s_waitcnt lgkmcnt(0)
	s_barrier
	ds_read2_b32 v[30:31], v44 offset1:42
	ds_read2_b32 v[38:39], v44 offset0:84 offset1:126
	ds_read2_b32 v[34:35], v44 offset0:168 offset1:210
	;; [unrolled: 1-line block ×5, first 2 shown]
	ds_read_b32 v107, v44 offset:2016
	v_lshrrev_b32_e32 v43, 16, v81
	s_and_saveexec_b64 s[2:3], vcc
	s_cbranch_execz .LBB0_15
; %bb.14:
	v_add_u32_e32 v11, 0x400, v60
	ds_read2_b32 v[27:28], v60 offset0:39 offset1:81
	ds_read2_b32 v[7:8], v60 offset0:123 offset1:165
	;; [unrolled: 1-line block ×6, first 2 shown]
	ds_read_b32 v86, v60 offset:2172
	s_mov_b32 s4, 0xffff
	s_waitcnt lgkmcnt(6)
	v_lshrrev_b32_e32 v87, 16, v27
	v_lshrrev_b32_e32 v88, 16, v28
	s_waitcnt lgkmcnt(5)
	v_lshrrev_b32_e32 v78, 16, v7
	v_lshrrev_b32_e32 v79, 16, v8
	;; [unrolled: 3-line block ×6, first 2 shown]
	s_waitcnt lgkmcnt(0)
	v_bfi_b32 v42, s4, v42, v86
.LBB0_15:
	s_or_b64 exec, exec, s[2:3]
	v_add_f16_e32 v29, v28, v27
	v_add_f16_e32 v29, v7, v29
	;; [unrolled: 1-line block ×14, first 2 shown]
	v_sub_f16_e32 v92, v28, v86
	v_add_f16_e32 v89, v76, v89
	v_add_f16_e32 v29, v12, v29
	v_add_f16_sdwa v98, v42, v88 dst_sel:DWORD dst_unused:UNUSED_PAD src0_sel:WORD_1 src1_sel:DWORD
	v_sub_f16_sdwa v96, v88, v42 dst_sel:DWORD dst_unused:UNUSED_PAD src0_sel:DWORD src1_sel:WORD_1
	s_movk_i32 s4, 0x3b15
	v_mul_f16_e32 v88, 0xb770, v92
	v_add_f16_e32 v89, v81, v89
	v_add_f16_e32 v29, v86, v29
	;; [unrolled: 1-line block ×3, first 2 shown]
	v_mul_f16_e32 v86, 0xb770, v96
	v_fma_f16 v91, v98, s4, -v88
	v_sub_f16_e32 v97, v78, v85
	v_add_f16_e32 v89, v83, v89
	v_fma_f16 v28, v90, s4, v86
	v_add_f16_e32 v94, v87, v91
	v_add_f16_e32 v91, v12, v7
	v_sub_f16_e32 v93, v7, v12
	s_movk_i32 s5, 0x388b
	v_mul_f16_e32 v7, 0xba95, v97
	v_add_f16_e32 v89, v80, v89
	v_add_f16_e32 v28, v27, v28
	v_fma_f16 v12, v91, s5, v7
	v_add_f16_e32 v89, v82, v89
	v_add_f16_e32 v100, v85, v78
	;; [unrolled: 1-line block ×3, first 2 shown]
	v_mul_f16_e32 v12, 0xba95, v93
	v_add_f16_e32 v89, v84, v89
	v_fma_f16 v78, v100, s5, -v12
	v_sub_f16_e32 v99, v79, v84
	v_add_f16_e32 v89, v85, v89
	v_add_f16_e32 v94, v78, v94
	;; [unrolled: 1-line block ×3, first 2 shown]
	v_sub_f16_e32 v85, v8, v11
	s_movk_i32 s12, 0x2fb7
	v_mul_f16_e32 v8, 0xbbf1, v99
	v_fma_f16 v11, v78, s12, v8
	v_add_f16_e32 v102, v84, v79
	v_add_f16_e32 v28, v11, v28
	v_mul_f16_e32 v11, 0xbbf1, v85
	v_fma_f16 v79, v102, s12, -v11
	v_sub_f16_e32 v101, v77, v82
	v_add_f16_e32 v94, v79, v94
	v_add_f16_e32 v79, v14, v9
	v_sub_f16_e32 v84, v9, v14
	s_mov_b32 s14, 0xb5ac
	v_mul_f16_e32 v9, 0xbb7b, v101
	v_fma_f16 v14, v79, s14, v9
	v_add_f16_e32 v104, v82, v77
	v_add_f16_e32 v28, v14, v28
	v_mul_f16_e32 v14, 0xbb7b, v84
	v_fma_f16 v77, v104, s14, -v14
	v_sub_f16_e32 v103, v76, v80
	v_add_f16_e32 v82, v77, v94
	v_add_f16_e32 v77, v13, v10
	v_sub_f16_e32 v94, v10, v13
	s_mov_b32 s15, 0xb9fd
	v_mul_f16_e32 v10, 0xb94e, v103
	v_add_f16_e32 v105, v80, v76
	v_fma_f16 v13, v77, s15, v10
	v_mul_f16_e32 v76, 0xb94e, v94
	v_add_f16_e32 v28, v13, v28
	v_fma_f16 v13, v105, s15, -v76
	v_add_f16_e32 v106, v83, v81
	v_sub_f16_e32 v81, v81, v83
	v_add_f16_e32 v109, v13, v82
	v_add_f16_e32 v82, v43, v42
	v_sub_f16_e32 v95, v42, v43
	s_mov_b32 s17, 0xbbc4
	v_mul_f16_e32 v13, 0xb3a8, v81
	v_add_f16_sdwa v89, v42, v89 dst_sel:DWORD dst_unused:UNUSED_PAD src0_sel:WORD_1 src1_sel:DWORD
	v_fma_f16 v42, v82, s17, v13
	v_mul_f16_e32 v80, 0xb3a8, v95
	s_waitcnt lgkmcnt(6)
	v_pk_add_f16 v108, v30, v31
	v_add_f16_e32 v42, v42, v28
	v_fma_f16 v28, v106, s17, -v80
	v_add_f16_e32 v43, v28, v109
	s_waitcnt lgkmcnt(5)
	v_pk_add_f16 v28, v108, v38
	v_pk_add_f16 v28, v28, v39
	s_waitcnt lgkmcnt(4)
	v_pk_add_f16 v28, v28, v34
	v_pk_add_f16 v28, v28, v35
	;; [unrolled: 3-line block ×4, first 2 shown]
	s_waitcnt lgkmcnt(1)
	v_pk_add_f16 v28, v28, v40
	s_mov_b32 s22, 0xb770
	v_pk_add_f16 v28, v28, v41
	s_waitcnt lgkmcnt(0)
	v_pk_add_f16 v83, v107, v31
	v_pk_add_f16 v31, v31, v107 neg_lo:[0,1] neg_hi:[0,1]
	s_mov_b32 s13, 0xba95
	v_pk_add_f16 v28, v28, v107
	v_pk_mul_f16 v107, v31, s22 op_sel_hi:[1,0]
	v_pk_add_f16 v126, v41, v38
	v_pk_add_f16 v38, v38, v41 neg_lo:[0,1] neg_hi:[0,1]
	v_pk_fma_f16 v108, v83, s4, v107 op_sel:[0,0,1] op_sel_hi:[1,0,0]
	v_pk_fma_f16 v107, v83, s4, v107 op_sel:[0,0,1] op_sel_hi:[1,0,0] neg_lo:[0,0,1] neg_hi:[0,0,1]
	s_mov_b32 s2, 0xffff
	v_pk_mul_f16 v41, v38, s13 op_sel_hi:[1,0]
	v_bfi_b32 v109, s2, v108, v107
	v_pk_fma_f16 v127, v126, s5, v41 op_sel:[0,0,1] op_sel_hi:[1,0,0]
	v_pk_fma_f16 v41, v126, s5, v41 op_sel:[0,0,1] op_sel_hi:[1,0,0] neg_lo:[0,0,1] neg_hi:[0,0,1]
	s_mov_b32 s16, 0xbb7b
	v_pk_add_f16 v109, v30, v109
	v_mul_f16_sdwa v110, v31, s13 dst_sel:DWORD dst_unused:UNUSED_PAD src0_sel:WORD_1 src1_sel:DWORD
	v_bfi_b32 v128, s2, v127, v41
	v_fma_f16 v111, v83, s5, v110
	v_pk_add_f16 v109, v128, v109
	v_mul_f16_sdwa v128, v38, s16 dst_sel:DWORD dst_unused:UNUSED_PAD src0_sel:WORD_1 src1_sel:DWORD
	v_add_f16_e32 v111, v30, v111
	v_mul_f16_sdwa v112, v83, s5 dst_sel:DWORD dst_unused:UNUSED_PAD src0_sel:WORD_1 src1_sel:DWORD
	s_movk_i32 s24, 0x3a95
	v_fma_f16 v110, v83, s5, -v110
	v_fma_f16 v129, v126, s14, v128
	s_mov_b32 s18, 0xbbf1
	v_fma_f16 v113, v31, s24, v112
	v_add_f16_e32 v110, v30, v110
	v_fma_f16 v112, v31, s13, v112
	v_add_f16_e32 v111, v129, v111
	v_mul_f16_sdwa v129, v126, s14 dst_sel:DWORD dst_unused:UNUSED_PAD src0_sel:WORD_1 src1_sel:DWORD
	v_fma_f16 v128, v126, s14, -v128
	s_mov_b32 s19, 0xb3a8
	v_add_f16_sdwa v112, v30, v112 dst_sel:DWORD dst_unused:UNUSED_PAD src0_sel:WORD_1 src1_sel:DWORD
	v_mul_f16_sdwa v114, v31, s18 dst_sel:DWORD dst_unused:UNUSED_PAD src0_sel:WORD_1 src1_sel:DWORD
	v_add_f16_e32 v110, v128, v110
	v_fma_f16 v128, v38, s16, v129
	v_fma_f16 v115, v83, s12, v114
	s_movk_i32 s25, 0x3b7b
	v_add_f16_e32 v112, v128, v112
	v_mul_f16_sdwa v128, v38, s19 dst_sel:DWORD dst_unused:UNUSED_PAD src0_sel:WORD_1 src1_sel:DWORD
	v_add_f16_e32 v115, v30, v115
	v_mul_f16_sdwa v116, v83, s12 dst_sel:DWORD dst_unused:UNUSED_PAD src0_sel:WORD_1 src1_sel:DWORD
	s_movk_i32 s21, 0x3bf1
	v_fma_f16 v114, v83, s12, -v114
	v_fma_f16 v130, v38, s25, v129
	v_fma_f16 v129, v126, s17, v128
	;; [unrolled: 1-line block ×3, first 2 shown]
	v_add_f16_e32 v114, v30, v114
	v_fma_f16 v116, v31, s18, v116
	v_add_f16_e32 v115, v129, v115
	v_mul_f16_sdwa v129, v126, s17 dst_sel:DWORD dst_unused:UNUSED_PAD src0_sel:WORD_1 src1_sel:DWORD
	v_fma_f16 v128, v126, s17, -v128
	v_add_f16_sdwa v116, v30, v116 dst_sel:DWORD dst_unused:UNUSED_PAD src0_sel:WORD_1 src1_sel:DWORD
	v_mul_f16_sdwa v118, v31, s16 dst_sel:DWORD dst_unused:UNUSED_PAD src0_sel:WORD_1 src1_sel:DWORD
	s_movk_i32 s23, 0x394e
	v_add_f16_e32 v114, v128, v114
	v_fma_f16 v128, v38, s19, v129
	v_add_f16_sdwa v113, v30, v113 dst_sel:DWORD dst_unused:UNUSED_PAD src0_sel:WORD_1 src1_sel:DWORD
	v_fma_f16 v119, v83, s14, v118
	s_movk_i32 s26, 0x33a8
	v_add_f16_e32 v116, v128, v116
	v_mul_f16_sdwa v128, v38, s23 dst_sel:DWORD dst_unused:UNUSED_PAD src0_sel:WORD_1 src1_sel:DWORD
	v_add_f16_e32 v119, v30, v119
	v_mul_f16_sdwa v120, v83, s14 dst_sel:DWORD dst_unused:UNUSED_PAD src0_sel:WORD_1 src1_sel:DWORD
	v_fma_f16 v118, v83, s14, -v118
	v_add_f16_e32 v113, v130, v113
	v_fma_f16 v130, v38, s26, v129
	v_fma_f16 v129, v126, s15, v128
	s_mov_b32 s20, 0xb94e
	v_fma_f16 v121, v31, s25, v120
	v_add_f16_e32 v118, v30, v118
	v_fma_f16 v120, v31, s16, v120
	v_add_f16_e32 v119, v129, v119
	v_mul_f16_sdwa v129, v126, s15 dst_sel:DWORD dst_unused:UNUSED_PAD src0_sel:WORD_1 src1_sel:DWORD
	v_fma_f16 v128, v126, s15, -v128
	v_add_f16_sdwa v120, v30, v120 dst_sel:DWORD dst_unused:UNUSED_PAD src0_sel:WORD_1 src1_sel:DWORD
	v_mul_f16_sdwa v122, v31, s20 dst_sel:DWORD dst_unused:UNUSED_PAD src0_sel:WORD_1 src1_sel:DWORD
	v_add_f16_e32 v118, v128, v118
	v_fma_f16 v128, v38, s23, v129
	v_add_f16_sdwa v117, v30, v117 dst_sel:DWORD dst_unused:UNUSED_PAD src0_sel:WORD_1 src1_sel:DWORD
	v_fma_f16 v123, v83, s15, v122
	v_add_f16_e32 v120, v128, v120
	v_mul_f16_sdwa v128, v38, s21 dst_sel:DWORD dst_unused:UNUSED_PAD src0_sel:WORD_1 src1_sel:DWORD
	v_add_f16_e32 v123, v30, v123
	v_mul_f16_sdwa v124, v83, s15 dst_sel:DWORD dst_unused:UNUSED_PAD src0_sel:WORD_1 src1_sel:DWORD
	v_fma_f16 v122, v83, s15, -v122
	v_add_f16_e32 v117, v130, v117
	v_fma_f16 v130, v38, s20, v129
	v_fma_f16 v129, v126, s12, v128
	;; [unrolled: 1-line block ×3, first 2 shown]
	v_add_f16_e32 v122, v30, v122
	v_fma_f16 v124, v31, s20, v124
	v_add_f16_e32 v123, v129, v123
	v_mul_f16_sdwa v129, v126, s12 dst_sel:DWORD dst_unused:UNUSED_PAD src0_sel:WORD_1 src1_sel:DWORD
	v_fma_f16 v128, v126, s12, -v128
	v_add_f16_sdwa v124, v30, v124 dst_sel:DWORD dst_unused:UNUSED_PAD src0_sel:WORD_1 src1_sel:DWORD
	v_add_f16_e32 v122, v128, v122
	v_fma_f16 v128, v38, s21, v129
	v_add_f16_e32 v124, v128, v124
	v_pk_add_f16 v128, v40, v39
	v_pk_add_f16 v39, v39, v40 neg_lo:[0,1] neg_hi:[0,1]
	v_add_f16_sdwa v121, v30, v121 dst_sel:DWORD dst_unused:UNUSED_PAD src0_sel:WORD_1 src1_sel:DWORD
	v_pk_mul_f16 v40, v39, s18 op_sel_hi:[1,0]
	v_add_f16_sdwa v125, v30, v125 dst_sel:DWORD dst_unused:UNUSED_PAD src0_sel:WORD_1 src1_sel:DWORD
	v_add_f16_e32 v121, v130, v121
	v_fma_f16 v130, v38, s18, v129
	v_pk_fma_f16 v129, v128, s12, v40 op_sel:[0,0,1] op_sel_hi:[1,0,0]
	v_pk_fma_f16 v40, v128, s12, v40 op_sel:[0,0,1] op_sel_hi:[1,0,0] neg_lo:[0,0,1] neg_hi:[0,0,1]
	v_add_f16_e32 v125, v130, v125
	v_bfi_b32 v130, s2, v129, v40
	v_pk_add_f16 v109, v130, v109
	v_mul_f16_sdwa v130, v39, s19 dst_sel:DWORD dst_unused:UNUSED_PAD src0_sel:WORD_1 src1_sel:DWORD
	v_fma_f16 v131, v128, s17, v130
	v_add_f16_e32 v111, v131, v111
	v_mul_f16_sdwa v131, v128, s17 dst_sel:DWORD dst_unused:UNUSED_PAD src0_sel:WORD_1 src1_sel:DWORD
	v_fma_f16 v130, v128, s17, -v130
	v_add_f16_e32 v110, v130, v110
	v_fma_f16 v130, v39, s19, v131
	v_add_f16_e32 v112, v130, v112
	v_mul_f16_sdwa v130, v39, s25 dst_sel:DWORD dst_unused:UNUSED_PAD src0_sel:WORD_1 src1_sel:DWORD
	v_fma_f16 v132, v39, s26, v131
	v_fma_f16 v131, v128, s14, v130
	v_add_f16_e32 v115, v131, v115
	v_mul_f16_sdwa v131, v128, s14 dst_sel:DWORD dst_unused:UNUSED_PAD src0_sel:WORD_1 src1_sel:DWORD
	v_fma_f16 v130, v128, s14, -v130
	v_add_f16_e32 v114, v130, v114
	v_fma_f16 v130, v39, s25, v131
	s_movk_i32 s27, 0x3770
	v_add_f16_e32 v116, v130, v116
	v_mul_f16_sdwa v130, v39, s27 dst_sel:DWORD dst_unused:UNUSED_PAD src0_sel:WORD_1 src1_sel:DWORD
	v_add_f16_e32 v113, v132, v113
	v_fma_f16 v132, v39, s16, v131
	v_fma_f16 v131, v128, s4, v130
	v_add_f16_e32 v119, v131, v119
	v_mul_f16_sdwa v131, v128, s4 dst_sel:DWORD dst_unused:UNUSED_PAD src0_sel:WORD_1 src1_sel:DWORD
	v_fma_f16 v130, v128, s4, -v130
	v_add_f16_e32 v118, v130, v118
	v_fma_f16 v130, v39, s27, v131
	v_add_f16_e32 v120, v130, v120
	v_mul_f16_sdwa v130, v39, s13 dst_sel:DWORD dst_unused:UNUSED_PAD src0_sel:WORD_1 src1_sel:DWORD
	v_add_f16_e32 v117, v132, v117
	v_fma_f16 v132, v39, s22, v131
	v_fma_f16 v131, v128, s5, v130
	v_add_f16_e32 v123, v131, v123
	v_mul_f16_sdwa v131, v128, s5 dst_sel:DWORD dst_unused:UNUSED_PAD src0_sel:WORD_1 src1_sel:DWORD
	v_fma_f16 v130, v128, s5, -v130
	v_add_f16_e32 v122, v130, v122
	v_fma_f16 v130, v39, s13, v131
	v_add_f16_e32 v124, v130, v124
	v_pk_add_f16 v130, v37, v34
	v_pk_add_f16 v34, v34, v37 neg_lo:[0,1] neg_hi:[0,1]
	v_pk_mul_f16 v37, v34, s16 op_sel_hi:[1,0]
	v_add_f16_e32 v121, v132, v121
	v_fma_f16 v132, v39, s24, v131
	v_pk_fma_f16 v131, v130, s14, v37 op_sel:[0,0,1] op_sel_hi:[1,0,0]
	v_pk_fma_f16 v37, v130, s14, v37 op_sel:[0,0,1] op_sel_hi:[1,0,0] neg_lo:[0,0,1] neg_hi:[0,0,1]
	v_add_f16_e32 v125, v132, v125
	v_bfi_b32 v132, s2, v131, v37
	v_pk_add_f16 v109, v132, v109
	v_mul_f16_sdwa v132, v34, s23 dst_sel:DWORD dst_unused:UNUSED_PAD src0_sel:WORD_1 src1_sel:DWORD
	v_fma_f16 v133, v130, s15, v132
	v_add_f16_e32 v111, v133, v111
	v_mul_f16_sdwa v133, v130, s15 dst_sel:DWORD dst_unused:UNUSED_PAD src0_sel:WORD_1 src1_sel:DWORD
	v_fma_f16 v132, v130, s15, -v132
	v_add_f16_e32 v110, v132, v110
	v_fma_f16 v132, v34, s23, v133
	v_add_f16_e32 v112, v132, v112
	v_mul_f16_sdwa v132, v34, s27 dst_sel:DWORD dst_unused:UNUSED_PAD src0_sel:WORD_1 src1_sel:DWORD
	v_fma_f16 v134, v34, s20, v133
	v_fma_f16 v133, v130, s4, v132
	v_add_f16_e32 v115, v133, v115
	v_mul_f16_sdwa v133, v130, s4 dst_sel:DWORD dst_unused:UNUSED_PAD src0_sel:WORD_1 src1_sel:DWORD
	v_fma_f16 v132, v130, s4, -v132
	v_add_f16_e32 v114, v132, v114
	v_fma_f16 v132, v34, s27, v133
	v_add_f16_e32 v116, v132, v116
	v_mul_f16_sdwa v132, v34, s18 dst_sel:DWORD dst_unused:UNUSED_PAD src0_sel:WORD_1 src1_sel:DWORD
	v_add_f16_e32 v113, v134, v113
	v_fma_f16 v134, v34, s22, v133
	v_fma_f16 v133, v130, s12, v132
	v_add_f16_e32 v119, v133, v119
	v_mul_f16_sdwa v133, v130, s12 dst_sel:DWORD dst_unused:UNUSED_PAD src0_sel:WORD_1 src1_sel:DWORD
	v_fma_f16 v132, v130, s12, -v132
	v_add_f16_e32 v118, v132, v118
	v_fma_f16 v132, v34, s18, v133
	v_add_f16_e32 v120, v132, v120
	v_mul_f16_sdwa v132, v34, s26 dst_sel:DWORD dst_unused:UNUSED_PAD src0_sel:WORD_1 src1_sel:DWORD
	v_add_f16_e32 v117, v134, v117
	v_fma_f16 v134, v34, s21, v133
	v_fma_f16 v133, v130, s17, v132
	v_add_f16_e32 v123, v133, v123
	v_mul_f16_sdwa v133, v130, s17 dst_sel:DWORD dst_unused:UNUSED_PAD src0_sel:WORD_1 src1_sel:DWORD
	v_fma_f16 v132, v130, s17, -v132
	v_add_f16_e32 v122, v132, v122
	v_fma_f16 v132, v34, s26, v133
	v_add_f16_e32 v124, v132, v124
	v_pk_add_f16 v132, v36, v35
	v_pk_add_f16 v35, v35, v36 neg_lo:[0,1] neg_hi:[0,1]
	v_pk_mul_f16 v36, v35, s20 op_sel_hi:[1,0]
	v_add_f16_e32 v121, v134, v121
	v_fma_f16 v134, v34, s19, v133
	v_pk_fma_f16 v133, v132, s15, v36 op_sel:[0,0,1] op_sel_hi:[1,0,0]
	v_pk_fma_f16 v36, v132, s15, v36 op_sel:[0,0,1] op_sel_hi:[1,0,0] neg_lo:[0,0,1] neg_hi:[0,0,1]
	v_add_f16_e32 v125, v134, v125
	v_bfi_b32 v134, s2, v133, v36
	v_pk_add_f16 v109, v134, v109
	v_mul_f16_sdwa v134, v35, s21 dst_sel:DWORD dst_unused:UNUSED_PAD src0_sel:WORD_1 src1_sel:DWORD
	v_fma_f16 v135, v132, s12, v134
	v_add_f16_e32 v111, v135, v111
	v_mul_f16_sdwa v135, v132, s12 dst_sel:DWORD dst_unused:UNUSED_PAD src0_sel:WORD_1 src1_sel:DWORD
	v_fma_f16 v134, v132, s12, -v134
	v_add_f16_e32 v110, v134, v110
	v_fma_f16 v134, v35, s21, v135
	v_add_f16_e32 v112, v134, v112
	v_mul_f16_sdwa v134, v35, s13 dst_sel:DWORD dst_unused:UNUSED_PAD src0_sel:WORD_1 src1_sel:DWORD
	v_fma_f16 v136, v35, s18, v135
	v_fma_f16 v135, v132, s5, v134
	v_add_f16_e32 v115, v135, v115
	v_mul_f16_sdwa v135, v132, s5 dst_sel:DWORD dst_unused:UNUSED_PAD src0_sel:WORD_1 src1_sel:DWORD
	v_fma_f16 v134, v132, s5, -v134
	v_add_f16_e32 v114, v134, v114
	v_fma_f16 v134, v35, s13, v135
	v_add_f16_e32 v116, v134, v116
	v_mul_f16_sdwa v134, v35, s26 dst_sel:DWORD dst_unused:UNUSED_PAD src0_sel:WORD_1 src1_sel:DWORD
	v_add_f16_e32 v113, v136, v113
	v_fma_f16 v136, v35, s24, v135
	v_fma_f16 v135, v132, s17, v134
	v_add_f16_e32 v119, v135, v119
	v_mul_f16_sdwa v135, v132, s17 dst_sel:DWORD dst_unused:UNUSED_PAD src0_sel:WORD_1 src1_sel:DWORD
	v_fma_f16 v134, v132, s17, -v134
	v_add_f16_e32 v118, v134, v118
	v_fma_f16 v134, v35, s26, v135
	v_add_f16_e32 v120, v134, v120
	v_mul_f16_sdwa v134, v35, s27 dst_sel:DWORD dst_unused:UNUSED_PAD src0_sel:WORD_1 src1_sel:DWORD
	v_add_f16_e32 v117, v136, v117
	v_fma_f16 v136, v35, s19, v135
	v_fma_f16 v135, v132, s4, v134
	v_add_f16_e32 v123, v135, v123
	v_mul_f16_sdwa v135, v132, s4 dst_sel:DWORD dst_unused:UNUSED_PAD src0_sel:WORD_1 src1_sel:DWORD
	v_fma_f16 v134, v132, s4, -v134
	v_add_f16_e32 v122, v134, v122
	v_fma_f16 v134, v35, s27, v135
	v_add_f16_e32 v124, v134, v124
	v_pk_add_f16 v134, v33, v32
	v_pk_add_f16 v32, v32, v33 neg_lo:[0,1] neg_hi:[0,1]
	v_pk_mul_f16 v33, v32, s19 op_sel_hi:[1,0]
	v_add_f16_e32 v121, v136, v121
	v_fma_f16 v136, v35, s22, v135
	v_pk_fma_f16 v135, v134, s17, v33 op_sel:[0,0,1] op_sel_hi:[1,0,0]
	v_pk_fma_f16 v33, v134, s17, v33 op_sel:[0,0,1] op_sel_hi:[1,0,0] neg_lo:[0,0,1] neg_hi:[0,0,1]
	v_add_f16_e32 v125, v136, v125
	v_bfi_b32 v136, s2, v135, v33
	v_pk_add_f16 v109, v136, v109
	v_mul_f16_sdwa v136, v32, s27 dst_sel:DWORD dst_unused:UNUSED_PAD src0_sel:WORD_1 src1_sel:DWORD
	v_fma_f16 v137, v134, s4, v136
	v_add_f16_e32 v111, v137, v111
	v_mul_f16_sdwa v137, v134, s4 dst_sel:DWORD dst_unused:UNUSED_PAD src0_sel:WORD_1 src1_sel:DWORD
	v_fma_f16 v136, v134, s4, -v136
	v_add_f16_e32 v110, v136, v110
	v_fma_f16 v136, v32, s27, v137
	v_add_f16_e32 v112, v136, v112
	v_mul_f16_sdwa v136, v32, s20 dst_sel:DWORD dst_unused:UNUSED_PAD src0_sel:WORD_1 src1_sel:DWORD
	v_fma_f16 v138, v32, s22, v137
	v_fma_f16 v137, v134, s15, v136
	v_add_f16_e32 v115, v137, v115
	v_mul_f16_sdwa v137, v134, s15 dst_sel:DWORD dst_unused:UNUSED_PAD src0_sel:WORD_1 src1_sel:DWORD
	v_fma_f16 v136, v134, s15, -v136
	v_add_f16_e32 v114, v136, v114
	v_fma_f16 v136, v32, s20, v137
	v_add_f16_e32 v116, v136, v116
	v_mul_f16_sdwa v136, v32, s24 dst_sel:DWORD dst_unused:UNUSED_PAD src0_sel:WORD_1 src1_sel:DWORD
	v_add_f16_e32 v113, v138, v113
	v_fma_f16 v138, v32, s23, v137
	v_fma_f16 v137, v134, s5, v136
	v_add_f16_e32 v119, v137, v119
	v_mul_f16_sdwa v137, v134, s5 dst_sel:DWORD dst_unused:UNUSED_PAD src0_sel:WORD_1 src1_sel:DWORD
	v_fma_f16 v136, v134, s5, -v136
	v_add_f16_e32 v118, v136, v118
	v_fma_f16 v136, v32, s24, v137
	v_add_f16_e32 v120, v136, v120
	v_mul_f16_sdwa v136, v32, s16 dst_sel:DWORD dst_unused:UNUSED_PAD src0_sel:WORD_1 src1_sel:DWORD
	v_add_f16_e32 v117, v138, v117
	v_fma_f16 v138, v32, s13, v137
	v_fma_f16 v137, v134, s14, v136
	v_add_f16_e32 v123, v137, v123
	v_mul_f16_sdwa v137, v134, s14 dst_sel:DWORD dst_unused:UNUSED_PAD src0_sel:WORD_1 src1_sel:DWORD
	v_add_f16_e32 v121, v138, v121
	v_fma_f16 v138, v32, s25, v137
	s_barrier
	v_add_f16_e32 v125, v138, v125
	ds_write2_b32 v61, v28, v109 offset1:1
	v_pack_b32_f16 v28, v115, v117
	v_pack_b32_f16 v109, v111, v113
	ds_write2_b32 v61, v109, v28 offset0:2 offset1:3
	v_pack_b32_f16 v28, v123, v125
	v_pack_b32_f16 v109, v119, v121
	ds_write2_b32 v61, v109, v28 offset0:4 offset1:5
	v_pk_mul_f16 v28, v83, s17 op_sel_hi:[1,0]
	v_pk_fma_f16 v83, v31, s19, v28 op_sel:[0,0,1] op_sel_hi:[1,0,0]
	v_pk_fma_f16 v28, v31, s19, v28 op_sel:[0,0,1] op_sel_hi:[1,0,0] neg_lo:[1,0,0] neg_hi:[1,0,0]
	v_alignbit_b32 v31, s0, v30, 16
	v_alignbit_b32 v109, s0, v83, 16
	v_pk_add_f16 v31, v31, v83
	v_pk_mul_f16 v83, v126, s4 op_sel_hi:[1,0]
	v_pk_add_f16 v28, v30, v28 op_sel:[1,0] op_sel_hi:[0,1]
	v_pk_fma_f16 v111, v38, s27, v83 op_sel:[0,0,1] op_sel_hi:[1,0,0]
	v_pk_fma_f16 v38, v38, s27, v83 op_sel:[0,0,1] op_sel_hi:[1,0,0] neg_lo:[1,0,0] neg_hi:[1,0,0]
	v_pk_add_f16 v28, v38, v28
	v_pk_mul_f16 v38, v128, s15 op_sel_hi:[1,0]
	v_pk_fma_f16 v83, v39, s20, v38 op_sel:[0,0,1] op_sel_hi:[1,0,0]
	v_pk_fma_f16 v38, v39, s20, v38 op_sel:[0,0,1] op_sel_hi:[1,0,0] neg_lo:[1,0,0] neg_hi:[1,0,0]
	v_pk_add_f16 v28, v38, v28
	v_pk_mul_f16 v38, v130, s5 op_sel_hi:[1,0]
	v_pk_fma_f16 v39, v34, s24, v38 op_sel:[0,0,1] op_sel_hi:[1,0,0]
	v_pk_fma_f16 v34, v34, s24, v38 op_sel:[0,0,1] op_sel_hi:[1,0,0] neg_lo:[1,0,0] neg_hi:[1,0,0]
	v_pk_add_f16 v109, v30, v109
	v_alignbit_b32 v113, s0, v111, 16
	v_pk_add_f16 v28, v34, v28
	v_pk_mul_f16 v34, v132, s14 op_sel_hi:[1,0]
	v_pk_add_f16 v109, v113, v109
	v_pk_add_f16 v31, v111, v31
	v_alignbit_b32 v111, s0, v83, 16
	v_pk_fma_f16 v38, v35, s16, v34 op_sel:[0,0,1] op_sel_hi:[1,0,0]
	v_pk_fma_f16 v34, v35, s16, v34 op_sel:[0,0,1] op_sel_hi:[1,0,0] neg_lo:[1,0,0] neg_hi:[1,0,0]
	v_pk_add_f16 v109, v111, v109
	v_pk_add_f16 v31, v83, v31
	v_alignbit_b32 v83, s0, v39, 16
	v_pk_add_f16 v28, v34, v28
	v_pk_mul_f16 v34, v134, s12 op_sel_hi:[1,0]
	v_fma_f16 v136, v134, s14, -v136
	v_pk_add_f16 v83, v83, v109
	v_pk_add_f16 v31, v39, v31
	v_alignbit_b32 v39, s0, v38, 16
	v_pk_fma_f16 v35, v32, s21, v34 op_sel:[0,0,1] op_sel_hi:[1,0,0]
	v_add_f16_e32 v122, v136, v122
	v_fma_f16 v136, v32, s16, v137
	v_pk_add_f16 v39, v39, v83
	v_pk_add_f16 v31, v38, v31
	v_alignbit_b32 v38, s0, v35, 16
	v_pk_fma_f16 v32, v32, s21, v34 op_sel:[0,0,1] op_sel_hi:[1,0,0] neg_lo:[1,0,0] neg_hi:[1,0,0]
	v_pk_add_f16 v38, v38, v39
	v_pk_add_f16 v28, v32, v28
	;; [unrolled: 1-line block ×3, first 2 shown]
	v_add_f16_e32 v124, v136, v124
	v_alignbit_b32 v31, v31, v28, 16
	v_pack_b32_f16 v28, v38, v28
	ds_write2_b32 v61, v28, v31 offset0:6 offset1:7
	v_pack_b32_f16 v28, v118, v120
	v_pack_b32_f16 v31, v122, v124
	ds_write2_b32 v61, v31, v28 offset0:8 offset1:9
	v_pack_b32_f16 v28, v110, v112
	v_pack_b32_f16 v31, v114, v116
	ds_write2_b32 v61, v31, v28 offset0:10 offset1:11
	v_bfi_b32 v28, s2, v107, v108
	v_pk_add_f16 v28, v30, v28
	v_bfi_b32 v30, s2, v41, v127
	v_pk_add_f16 v28, v30, v28
	;; [unrolled: 2-line block ×6, first 2 shown]
	ds_write_b32 v61, v28 offset:48
	s_and_saveexec_b64 s[2:3], vcc
	s_cbranch_execz .LBB0_17
; %bb.16:
	v_mul_f16_e32 v61, 0xbbc4, v98
	v_fma_f16 v83, v92, s26, v61
	v_mul_f16_e32 v107, 0x3b15, v100
	v_add_f16_e32 v83, v87, v83
	v_fma_f16 v108, v93, s22, v107
	v_add_f16_e32 v83, v108, v83
	v_mul_f16_e32 v108, 0xb9fd, v102
	v_fma_f16 v109, v85, s23, v108
	v_add_f16_e32 v83, v109, v83
	v_mul_f16_e32 v109, 0x388b, v104
	v_fma_f16 v110, v84, s13, v109
	v_add_f16_e32 v83, v110, v83
	v_mul_f16_e32 v110, 0xb5ac, v105
	v_fma_f16 v111, v94, s25, v110
	v_add_f16_e32 v83, v111, v83
	v_mul_f16_e32 v111, 0x2fb7, v106
	v_fma_f16 v112, v95, s18, v111
	v_add_f16_e32 v83, v112, v83
	v_mul_f16_e32 v112, 0xb3a8, v96
	v_fma_f16 v113, v90, s17, v112
	v_mul_f16_e32 v114, 0x3770, v97
	v_add_f16_e32 v113, v27, v113
	v_fma_f16 v115, v91, s4, v114
	v_add_f16_e32 v113, v115, v113
	v_mul_f16_e32 v115, 0xb94e, v99
	v_fma_f16 v116, v78, s15, v115
	v_add_f16_e32 v113, v116, v113
	v_mul_f16_e32 v116, 0x3a95, v101
	v_fma_f16 v117, v79, s5, v116
	v_add_f16_e32 v113, v117, v113
	v_mul_f16_e32 v117, 0xbb7b, v103
	v_fma_f16 v118, v77, s14, v117
	v_add_f16_e32 v113, v118, v113
	v_mul_f16_e32 v118, 0x3bf1, v81
	v_fma_f16 v119, v82, s12, v118
	v_add_f16_e32 v113, v119, v113
	v_mul_f16_e32 v119, 0xb9fd, v98
	v_fma_f16 v120, v92, s23, v119
	v_mul_f16_e32 v121, 0x2fb7, v100
	v_add_f16_e32 v120, v87, v120
	v_fma_f16 v122, v93, s18, v121
	v_add_f16_e32 v120, v122, v120
	v_mul_f16_e32 v122, 0x388b, v102
	v_fma_f16 v123, v85, s24, v122
	v_add_f16_e32 v120, v123, v120
	v_mul_f16_e32 v123, 0xbbc4, v104
	v_fma_f16 v124, v84, s19, v123
	v_add_f16_e32 v120, v124, v120
	v_mul_f16_e32 v124, 0x3b15, v105
	v_fma_f16 v125, v94, s22, v124
	v_add_f16_e32 v120, v125, v120
	v_mul_f16_e32 v125, 0xb5ac, v106
	v_fma_f16 v126, v95, s25, v125
	v_add_f16_e32 v120, v126, v120
	v_mul_f16_e32 v126, 0xb94e, v96
	v_fma_f16 v127, v90, s15, v126
	v_mul_f16_e32 v128, 0x3bf1, v97
	v_add_f16_e32 v127, v27, v127
	v_fma_f16 v129, v91, s12, v128
	v_add_f16_e32 v127, v129, v127
	v_mul_f16_e32 v129, 0xba95, v99
	v_fma_f16 v130, v78, s5, v129
	v_add_f16_e32 v127, v130, v127
	v_mul_f16_e32 v130, 0x33a8, v101
	v_fma_f16 v131, v79, s17, v130
	v_add_f16_e32 v127, v131, v127
	v_mul_f16_e32 v131, 0x3770, v103
	v_fma_f16 v132, v77, s4, v131
	v_add_f16_e32 v127, v132, v127
	v_mul_f16_e32 v132, 0xbb7b, v81
	v_fma_f16 v133, v82, s14, v132
	v_add_f16_e32 v127, v133, v127
	v_mul_f16_e32 v133, 0xb5ac, v98
	v_fma_f16 v134, v92, s25, v133
	v_mul_f16_e32 v135, 0xb9fd, v100
	v_add_f16_e32 v134, v87, v134
	v_fma_f16 v136, v93, s20, v135
	v_add_f16_e32 v134, v136, v134
	v_mul_f16_e32 v136, 0x3b15, v102
	v_fma_f16 v137, v85, s22, v136
	v_add_f16_e32 v134, v137, v134
	v_mul_f16_e32 v137, 0x2fb7, v104
	;; [unrolled: 3-line block ×3, first 2 shown]
	v_fma_f16 v139, v94, s19, v138
	v_fma_f16 v61, v92, s19, v61
	v_add_f16_e32 v134, v139, v134
	v_mul_f16_e32 v139, 0x388b, v106
	v_add_f16_e32 v61, v87, v61
	v_fma_f16 v107, v93, s27, v107
	v_fma_f16 v140, v95, s13, v139
	v_add_f16_e32 v61, v107, v61
	v_fma_f16 v107, v85, s20, v108
	v_add_f16_e32 v134, v140, v134
	v_mul_f16_e32 v140, 0xbb7b, v96
	v_add_f16_e32 v61, v107, v61
	v_fma_f16 v107, v84, s24, v109
	v_fma_f16 v141, v90, s14, v140
	v_mul_f16_e32 v142, 0x394e, v97
	v_add_f16_e32 v61, v107, v61
	v_fma_f16 v107, v94, s16, v110
	v_add_f16_e32 v141, v27, v141
	v_fma_f16 v143, v91, s15, v142
	;; [unrolled: 2-line block ×3, first 2 shown]
	v_add_f16_e32 v141, v143, v141
	v_mul_f16_e32 v143, 0x3770, v99
	v_add_f16_e32 v61, v107, v61
	v_fma_f16 v107, v90, s17, -v112
	v_fma_f16 v144, v78, s4, v143
	v_add_f16_e32 v107, v27, v107
	v_fma_f16 v108, v91, s4, -v114
	v_add_f16_e32 v141, v144, v141
	v_mul_f16_e32 v144, 0xbbf1, v101
	v_add_f16_e32 v107, v108, v107
	v_fma_f16 v108, v78, s15, -v115
	v_fma_f16 v145, v79, s12, v144
	v_add_f16_e32 v107, v108, v107
	v_fma_f16 v108, v79, s5, -v116
	;; [unrolled: 7-line block ×3, first 2 shown]
	v_add_f16_e32 v141, v146, v141
	v_mul_f16_e32 v146, 0x3a95, v81
	v_add_f16_e32 v107, v108, v107
	v_fma_f16 v108, v92, s20, v119
	v_fma_f16 v147, v82, s5, v146
	v_add_f16_e32 v108, v87, v108
	v_fma_f16 v109, v93, s21, v121
	v_add_f16_e32 v141, v147, v141
	v_mul_f16_e32 v147, 0x2fb7, v98
	v_add_f16_e32 v108, v109, v108
	v_fma_f16 v109, v85, s13, v122
	v_fma_f16 v148, v92, s21, v147
	v_mul_f16_e32 v149, 0xbbc4, v100
	v_add_f16_e32 v108, v109, v108
	v_fma_f16 v109, v84, s26, v123
	v_add_f16_e32 v148, v87, v148
	v_fma_f16 v150, v93, s26, v149
	;; [unrolled: 2-line block ×3, first 2 shown]
	v_add_f16_e32 v148, v150, v148
	v_mul_f16_e32 v150, 0xb5ac, v102
	v_add_f16_e32 v108, v109, v108
	v_fma_f16 v109, v95, s16, v125
	v_fma_f16 v151, v85, s16, v150
	v_add_f16_e32 v108, v109, v108
	v_fma_f16 v109, v90, s15, -v126
	v_add_f16_e32 v148, v151, v148
	v_mul_f16_e32 v151, 0x3b15, v104
	v_add_f16_e32 v109, v27, v109
	v_fma_f16 v110, v91, s12, -v128
	v_fma_f16 v152, v84, s22, v151
	v_add_f16_e32 v109, v110, v109
	v_fma_f16 v110, v78, s5, -v129
	v_add_f16_e32 v148, v152, v148
	v_mul_f16_e32 v152, 0x388b, v105
	v_add_f16_e32 v109, v110, v109
	v_fma_f16 v110, v79, s17, -v130
	;; [unrolled: 7-line block ×3, first 2 shown]
	v_fma_f16 v154, v95, s23, v153
	v_add_f16_e32 v109, v110, v109
	v_fma_f16 v110, v92, s16, v133
	v_add_f16_e32 v148, v154, v148
	v_mul_f16_e32 v154, 0xbbf1, v96
	v_add_f16_e32 v110, v87, v110
	v_fma_f16 v111, v93, s23, v135
	v_fma_f16 v155, v90, s12, v154
	v_mul_f16_e32 v156, 0xb3a8, v97
	v_add_f16_e32 v110, v111, v110
	v_fma_f16 v111, v85, s27, v136
	v_add_f16_e32 v155, v27, v155
	v_fma_f16 v157, v91, s17, v156
	v_add_f16_e32 v110, v111, v110
	v_fma_f16 v111, v84, s18, v137
	v_add_f16_e32 v155, v157, v155
	v_mul_f16_e32 v157, 0x3b7b, v99
	v_add_f16_e32 v110, v111, v110
	v_fma_f16 v111, v94, s26, v138
	v_fma_f16 v158, v78, s14, v157
	v_add_f16_e32 v110, v111, v110
	v_fma_f16 v111, v95, s24, v139
	v_add_f16_e32 v155, v158, v155
	v_mul_f16_e32 v158, 0x3770, v101
	v_add_f16_e32 v110, v111, v110
	v_fma_f16 v111, v90, s14, -v140
	v_fma_f16 v159, v79, s4, v158
	v_add_f16_e32 v111, v27, v111
	v_fma_f16 v112, v91, s15, -v142
	v_add_f16_e32 v155, v159, v155
	v_mul_f16_e32 v159, 0xba95, v103
	v_add_f16_e32 v111, v112, v111
	v_fma_f16 v112, v78, s4, -v143
	v_fma_f16 v160, v77, s5, v159
	v_add_f16_e32 v111, v112, v111
	v_fma_f16 v112, v79, s12, -v144
	v_add_f16_e32 v155, v160, v155
	v_mul_f16_e32 v160, 0xb94e, v81
	v_add_f16_e32 v111, v112, v111
	v_fma_f16 v112, v77, s17, -v145
	v_mul_f16_e32 v31, 0x3b15, v98
	v_fma_f16 v161, v82, s15, v160
	v_mul_f16_e32 v98, 0x388b, v98
	v_add_f16_e32 v111, v112, v111
	v_fma_f16 v112, v82, s5, -v146
	v_mul_f16_e32 v33, 0x388b, v100
	v_add_f16_e32 v155, v161, v155
	v_fma_f16 v161, v92, s24, v98
	v_mul_f16_e32 v100, 0xb5ac, v100
	v_add_f16_e32 v111, v112, v111
	v_fma_f16 v112, v92, s18, v147
	v_fma_f16 v92, v92, s13, v98
	v_add_f16_e32 v31, v88, v31
	v_mul_f16_e32 v35, 0x2fb7, v102
	v_add_f16_e32 v161, v87, v161
	v_fma_f16 v162, v93, s25, v100
	v_mul_f16_e32 v102, 0xbbc4, v102
	v_add_f16_e32 v112, v87, v112
	v_fma_f16 v114, v93, s19, v149
	v_add_f16_e32 v92, v87, v92
	v_fma_f16 v93, v93, s16, v100
	v_add_f16_e32 v31, v87, v31
	v_add_f16_e32 v12, v12, v33
	v_mul_f16_e32 v37, 0xb5ac, v104
	v_add_f16_e32 v161, v162, v161
	v_fma_f16 v162, v85, s26, v102
	v_mul_f16_e32 v104, 0xb9fd, v104
	v_add_f16_e32 v112, v114, v112
	v_fma_f16 v114, v85, s25, v150
	v_add_f16_e32 v92, v93, v92
	v_fma_f16 v85, v85, s19, v102
	v_add_f16_e32 v12, v12, v31
	v_add_f16_e32 v11, v11, v35
	v_mul_f16_e32 v39, 0xb9fd, v105
	v_add_f16_e32 v161, v162, v161
	v_fma_f16 v162, v84, s20, v104
	v_mul_f16_e32 v105, 0x2fb7, v105
	v_add_f16_e32 v112, v114, v112
	v_fma_f16 v114, v84, s27, v151
	v_add_f16_e32 v85, v85, v92
	v_fma_f16 v84, v84, s23, v104
	v_add_f16_e32 v11, v11, v12
	v_add_f16_e32 v12, v14, v37
	v_mul_f16_e32 v41, 0xbbc4, v106
	v_add_f16_e32 v161, v162, v161
	v_fma_f16 v162, v94, s18, v105
	v_mul_f16_e32 v106, 0x3b15, v106
	v_add_f16_e32 v112, v114, v112
	v_fma_f16 v114, v94, s13, v152
	v_add_f16_e32 v84, v84, v85
	v_fma_f16 v85, v94, s21, v105
	v_add_f16_e32 v11, v12, v11
	v_add_f16_e32 v12, v76, v39
	v_mul_f16_e32 v30, 0x3b15, v90
	v_add_f16_e32 v161, v162, v161
	v_fma_f16 v162, v95, s22, v106
	v_mul_f16_e32 v96, 0xba95, v96
	v_add_f16_e32 v112, v114, v112
	v_fma_f16 v114, v95, s20, v153
	v_add_f16_e32 v84, v85, v84
	v_fma_f16 v85, v95, s27, v106
	v_add_f16_e32 v11, v12, v11
	v_add_f16_e32 v12, v80, v41
	v_mul_f16_e32 v32, 0x388b, v91
	v_add_f16_e32 v161, v162, v161
	v_fma_f16 v162, v90, s5, v96
	v_mul_f16_e32 v97, 0xbb7b, v97
	v_add_f16_e32 v112, v114, v112
	v_fma_f16 v114, v90, s12, -v154
	v_add_f16_e32 v84, v85, v84
	v_fma_f16 v85, v90, s5, -v96
	v_add_f16_e32 v11, v12, v11
	v_sub_f16_e32 v12, v30, v86
	v_mul_f16_e32 v34, 0x2fb7, v78
	v_add_f16_e32 v162, v27, v162
	v_fma_f16 v163, v91, s14, v97
	v_mul_f16_e32 v99, 0xb3a8, v99
	v_add_f16_e32 v114, v27, v114
	v_fma_f16 v115, v91, s17, -v156
	v_add_f16_e32 v85, v27, v85
	v_fma_f16 v90, v91, s14, -v97
	v_add_f16_e32 v12, v27, v12
	v_sub_f16_e32 v7, v32, v7
	;; [unrolled: 10-line block ×5, first 2 shown]
	v_add_f16_e32 v162, v163, v162
	v_fma_f16 v163, v82, s4, v81
	v_add_f16_e32 v77, v77, v78
	v_fma_f16 v78, v82, s4, -v81
	v_add_f16_e32 v7, v8, v7
	v_sub_f16_e32 v8, v40, v13
	s_mov_b32 s4, 0x5040100
	v_add_f16_e32 v162, v163, v162
	v_add_f16_e32 v7, v8, v7
	v_lshl_add_u32 v8, v63, 2, v59
	v_perm_b32 v9, v43, v42, s4
	v_perm_b32 v10, v89, v29, s4
	ds_write2_b32 v8, v10, v9 offset1:1
	v_pack_b32_f16 v9, v155, v148
	v_pack_b32_f16 v10, v162, v161
	ds_write2_b32 v8, v10, v9 offset0:2 offset1:3
	v_pack_b32_f16 v9, v127, v120
	v_pack_b32_f16 v10, v141, v134
	v_add_f16_e32 v114, v115, v114
	v_fma_f16 v115, v82, s15, -v160
	ds_write2_b32 v8, v10, v9 offset0:4 offset1:5
	v_pack_b32_f16 v9, v107, v61
	v_pack_b32_f16 v10, v113, v83
	v_add_f16_e32 v114, v115, v114
	v_add_f16_e32 v77, v78, v77
	ds_write2_b32 v8, v10, v9 offset0:6 offset1:7
	v_pack_b32_f16 v9, v111, v110
	v_pack_b32_f16 v10, v109, v108
	ds_write2_b32 v8, v10, v9 offset0:8 offset1:9
	v_pack_b32_f16 v9, v77, v84
	v_pack_b32_f16 v10, v114, v112
	v_pack_b32_f16 v7, v7, v11
	ds_write2_b32 v8, v10, v9 offset0:10 offset1:11
	ds_write_b32 v8, v7 offset:48
.LBB0_17:
	s_or_b64 exec, exec, s[2:3]
	v_add_u32_e32 v11, 0x400, v44
	s_waitcnt lgkmcnt(0)
	s_barrier
	ds_read2_b32 v[9:10], v44 offset1:39
	ds_read2_b32 v[30:31], v44 offset0:182 offset1:221
	ds_read2_b32 v[32:33], v11 offset0:108 offset1:147
	;; [unrolled: 1-line block ×5, first 2 shown]
	v_lshrrev_b32_e32 v35, 16, v28
	s_and_saveexec_b64 s[2:3], s[0:1]
	s_cbranch_execz .LBB0_19
; %bb.18:
	v_add_u32_e32 v27, 0x200, v44
	ds_read2_b32 v[28:29], v27 offset0:28 offset1:210
	ds_read_b32 v42, v44 offset:2080
	s_waitcnt lgkmcnt(1)
	v_lshrrev_b32_e32 v35, 16, v28
	v_lshrrev_b32_e32 v89, 16, v29
	s_waitcnt lgkmcnt(0)
	v_lshrrev_b32_e32 v43, 16, v42
.LBB0_19:
	s_or_b64 exec, exec, s[2:3]
	s_waitcnt lgkmcnt(4)
	v_lshrrev_b32_e32 v37, 16, v30
	v_mul_f16_sdwa v80, v19, v37 dst_sel:DWORD dst_unused:UNUSED_PAD src0_sel:WORD_1 src1_sel:DWORD
	s_waitcnt lgkmcnt(3)
	v_lshrrev_b32_e32 v38, 16, v32
	v_fma_f16 v80, v19, v30, v80
	v_mul_f16_sdwa v30, v19, v30 dst_sel:DWORD dst_unused:UNUSED_PAD src0_sel:WORD_1 src1_sel:DWORD
	v_fma_f16 v19, v19, v37, -v30
	v_mul_f16_sdwa v30, v20, v38 dst_sel:DWORD dst_unused:UNUSED_PAD src0_sel:WORD_1 src1_sel:DWORD
	v_lshrrev_b32_e32 v40, 16, v31
	v_fma_f16 v30, v20, v32, v30
	v_mul_f16_sdwa v32, v20, v32 dst_sel:DWORD dst_unused:UNUSED_PAD src0_sel:WORD_1 src1_sel:DWORD
	v_fma_f16 v20, v20, v38, -v32
	v_mul_f16_sdwa v32, v23, v40 dst_sel:DWORD dst_unused:UNUSED_PAD src0_sel:WORD_1 src1_sel:DWORD
	;; [unrolled: 5-line block ×3, first 2 shown]
	s_waitcnt lgkmcnt(1)
	v_lshrrev_b32_e32 v63, 16, v13
	v_fma_f16 v31, v24, v33, v31
	v_mul_f16_sdwa v33, v24, v33 dst_sel:DWORD dst_unused:UNUSED_PAD src0_sel:WORD_1 src1_sel:DWORD
	v_fma_f16 v24, v24, v41, -v33
	v_mul_f16_sdwa v33, v21, v63 dst_sel:DWORD dst_unused:UNUSED_PAD src0_sel:WORD_1 src1_sel:DWORD
	s_waitcnt lgkmcnt(0)
	v_lshrrev_b32_e32 v76, 16, v11
	v_fma_f16 v33, v21, v13, v33
	v_mul_f16_sdwa v13, v21, v13 dst_sel:DWORD dst_unused:UNUSED_PAD src0_sel:WORD_1 src1_sel:DWORD
	v_fma_f16 v13, v21, v63, -v13
	v_mul_f16_sdwa v21, v22, v76 dst_sel:DWORD dst_unused:UNUSED_PAD src0_sel:WORD_1 src1_sel:DWORD
	v_lshrrev_b32_e32 v78, 16, v14
	v_fma_f16 v21, v22, v11, v21
	v_mul_f16_sdwa v11, v22, v11 dst_sel:DWORD dst_unused:UNUSED_PAD src0_sel:WORD_1 src1_sel:DWORD
	v_fma_f16 v11, v22, v76, -v11
	v_mul_f16_sdwa v22, v17, v78 dst_sel:DWORD dst_unused:UNUSED_PAD src0_sel:WORD_1 src1_sel:DWORD
	;; [unrolled: 5-line block ×3, first 2 shown]
	v_fma_f16 v17, v18, v12, v17
	v_mul_f16_sdwa v12, v18, v12 dst_sel:DWORD dst_unused:UNUSED_PAD src0_sel:WORD_1 src1_sel:DWORD
	v_add_f16_e32 v37, v80, v30
	v_lshrrev_b32_e32 v36, 16, v9
	v_fma_f16 v12, v18, v79, -v12
	v_add_f16_e32 v18, v9, v80
	v_fma_f16 v9, v37, -0.5, v9
	v_sub_f16_e32 v37, v19, v20
	s_mov_b32 s4, 0xbaee
	s_movk_i32 s5, 0x3aee
	v_fma_f16 v38, v37, s4, v9
	v_fma_f16 v9, v37, s5, v9
	v_add_f16_e32 v37, v36, v19
	v_add_f16_e32 v19, v19, v20
	v_add_f16_e32 v37, v37, v20
	v_fma_f16 v19, v19, -0.5, v36
	v_sub_f16_e32 v20, v80, v30
	v_add_f16_e32 v36, v32, v31
	v_lshrrev_b32_e32 v39, 16, v10
	v_add_f16_e32 v18, v18, v30
	v_fma_f16 v30, v20, s5, v19
	v_fma_f16 v19, v20, s4, v19
	v_add_f16_e32 v20, v10, v32
	v_fma_f16 v10, v36, -0.5, v10
	v_sub_f16_e32 v36, v23, v24
	v_fma_f16 v40, v36, s4, v10
	v_fma_f16 v10, v36, s5, v10
	v_add_f16_e32 v36, v39, v23
	v_add_f16_e32 v23, v23, v24
	v_add_f16_e32 v36, v36, v24
	v_fma_f16 v23, v23, -0.5, v39
	v_sub_f16_e32 v24, v32, v31
	v_add_f16_e32 v32, v33, v21
	v_lshrrev_b32_e32 v61, 16, v7
	v_add_f16_e32 v20, v20, v31
	v_fma_f16 v31, v24, s5, v23
	v_fma_f16 v23, v24, s4, v23
	v_add_f16_e32 v24, v7, v33
	v_fma_f16 v7, v32, -0.5, v7
	v_sub_f16_e32 v32, v13, v11
	;; [unrolled: 15-line block ×3, first 2 shown]
	v_fma_f16 v41, v33, s4, v8
	v_fma_f16 v8, v33, s5, v8
	v_add_f16_e32 v33, v77, v14
	v_add_f16_e32 v33, v33, v12
	;; [unrolled: 1-line block ×3, first 2 shown]
	v_fma_f16 v12, v12, -0.5, v77
	v_sub_f16_e32 v14, v22, v17
	v_add_f16_e32 v13, v13, v17
	v_fma_f16 v17, v14, s5, v12
	v_fma_f16 v12, v14, s4, v12
	v_pack_b32_f16 v14, v18, v37
	v_pack_b32_f16 v18, v38, v30
	;; [unrolled: 1-line block ×3, first 2 shown]
	s_barrier
	ds_write2_b32 v65, v14, v18 offset1:13
	ds_write_b32 v65, v9 offset:104
	v_pack_b32_f16 v9, v20, v36
	v_pack_b32_f16 v14, v40, v31
	ds_write2_b32 v66, v9, v14 offset1:13
	v_pack_b32_f16 v9, v10, v23
	ds_write_b32 v66, v9 offset:104
	v_pack_b32_f16 v9, v24, v32
	v_pack_b32_f16 v10, v39, v21
	;; [unrolled: 1-line block ×3, first 2 shown]
	ds_write2_b32 v67, v9, v10 offset1:13
	ds_write_b32 v67, v7 offset:104
	v_pack_b32_f16 v7, v13, v33
	v_pack_b32_f16 v9, v41, v17
	v_add_u32_e32 v34, 0x30c, v44
	v_add_u32_e32 v27, 0x3a8, v44
	ds_write2_b32 v68, v7, v9 offset1:13
	v_pack_b32_f16 v7, v8, v12
	ds_write_b32 v68, v7 offset:104
	s_and_saveexec_b64 s[2:3], s[0:1]
	s_cbranch_execz .LBB0_21
; %bb.20:
	v_mul_f16_sdwa v7, v15, v29 dst_sel:DWORD dst_unused:UNUSED_PAD src0_sel:WORD_1 src1_sel:DWORD
	v_mul_f16_sdwa v8, v16, v42 dst_sel:DWORD dst_unused:UNUSED_PAD src0_sel:WORD_1 src1_sel:DWORD
	;; [unrolled: 1-line block ×4, first 2 shown]
	v_fma_f16 v7, v15, v89, -v7
	v_fma_f16 v8, v16, v43, -v8
	v_fma_f16 v10, v15, v29, v10
	v_fma_f16 v11, v16, v42, v11
	v_add_f16_e32 v9, v8, v7
	v_add_f16_e32 v14, v11, v10
	v_sub_f16_e32 v15, v7, v8
	v_add_f16_e32 v7, v7, v35
	v_fma_f16 v9, v9, -0.5, v35
	v_sub_f16_e32 v12, v10, v11
	v_fma_f16 v14, v14, -0.5, v28
	v_add_f16_e32 v7, v8, v7
	v_add_f16_e32 v8, v28, v10
	v_fma_f16 v13, v12, s4, v9
	v_fma_f16 v9, v12, s5, v9
	;; [unrolled: 1-line block ×3, first 2 shown]
	v_add_f16_e32 v8, v11, v8
	v_add_u32_sdwa v10, v64, v62 dst_sel:DWORD dst_unused:UNUSED_PAD src0_sel:DWORD src1_sel:BYTE_0
	v_fma_f16 v16, v15, s5, v14
	v_lshl_add_u32 v10, v10, 2, v59
	v_pack_b32_f16 v7, v8, v7
	v_pack_b32_f16 v8, v12, v9
	ds_write2_b32 v10, v7, v8 offset1:13
	v_pack_b32_f16 v7, v16, v13
	ds_write_b32 v10, v7 offset:104
.LBB0_21:
	s_or_b64 exec, exec, s[2:3]
	s_waitcnt lgkmcnt(0)
	s_barrier
	ds_read2_b32 v[9:10], v44 offset0:78 offset1:117
	ds_read2_b32 v[11:12], v44 offset1:39
	ds_read2_b32 v[13:14], v44 offset0:156 offset1:195
	v_add_u32_e32 v8, 0x200, v44
	ds_read2_b32 v[15:16], v8 offset0:106 offset1:145
	s_waitcnt lgkmcnt(3)
	v_lshrrev_b32_e32 v23, 16, v9
	v_mul_f16_sdwa v39, v0, v23 dst_sel:DWORD dst_unused:UNUSED_PAD src0_sel:WORD_1 src1_sel:DWORD
	v_add_u32_e32 v7, 0x400, v44
	s_waitcnt lgkmcnt(1)
	v_lshrrev_b32_e32 v24, 16, v13
	v_fma_f16 v39, v0, v9, v39
	v_mul_f16_sdwa v9, v0, v9 dst_sel:DWORD dst_unused:UNUSED_PAD src0_sel:WORD_1 src1_sel:DWORD
	ds_read2_b32 v[17:18], v7 offset0:56 offset1:95
	ds_read2_b32 v[19:20], v7 offset0:134 offset1:173
	;; [unrolled: 1-line block ×3, first 2 shown]
	v_fma_f16 v9, v0, v23, -v9
	v_mul_f16_sdwa v23, v1, v24 dst_sel:DWORD dst_unused:UNUSED_PAD src0_sel:WORD_1 src1_sel:DWORD
	s_waitcnt lgkmcnt(3)
	v_lshrrev_b32_e32 v28, 16, v15
	v_fma_f16 v23, v1, v13, v23
	v_mul_f16_sdwa v13, v1, v13 dst_sel:DWORD dst_unused:UNUSED_PAD src0_sel:WORD_1 src1_sel:DWORD
	v_fma_f16 v13, v1, v24, -v13
	v_mul_f16_sdwa v24, v2, v28 dst_sel:DWORD dst_unused:UNUSED_PAD src0_sel:WORD_1 src1_sel:DWORD
	s_waitcnt lgkmcnt(2)
	v_lshrrev_b32_e32 v29, 16, v17
	v_fma_f16 v24, v2, v15, v24
	v_mul_f16_sdwa v15, v2, v15 dst_sel:DWORD dst_unused:UNUSED_PAD src0_sel:WORD_1 src1_sel:DWORD
	;; [unrolled: 6-line block ×4, first 2 shown]
	v_fma_f16 v19, v25, v30, -v19
	v_mul_f16_sdwa v30, v26, v31 dst_sel:DWORD dst_unused:UNUSED_PAD src0_sel:WORD_1 src1_sel:DWORD
	v_lshrrev_b32_e32 v32, 16, v10
	v_fma_f16 v30, v26, v21, v30
	v_mul_f16_sdwa v21, v26, v21 dst_sel:DWORD dst_unused:UNUSED_PAD src0_sel:WORD_1 src1_sel:DWORD
	v_fma_f16 v21, v26, v31, -v21
	v_mul_f16_sdwa v31, v0, v32 dst_sel:DWORD dst_unused:UNUSED_PAD src0_sel:WORD_1 src1_sel:DWORD
	v_lshrrev_b32_e32 v33, 16, v14
	v_fma_f16 v31, v0, v10, v31
	v_mul_f16_sdwa v10, v0, v10 dst_sel:DWORD dst_unused:UNUSED_PAD src0_sel:WORD_1 src1_sel:DWORD
	;; [unrolled: 5-line block ×6, first 2 shown]
	v_fma_f16 v20, v25, v37, -v20
	v_mul_f16_sdwa v25, v26, v38 dst_sel:DWORD dst_unused:UNUSED_PAD src0_sel:WORD_1 src1_sel:DWORD
	v_fma_f16 v25, v26, v22, v25
	v_mul_f16_sdwa v22, v26, v22 dst_sel:DWORD dst_unused:UNUSED_PAD src0_sel:WORD_1 src1_sel:DWORD
	v_fma_f16 v22, v26, v38, -v22
	v_add_f16_e32 v26, v39, v30
	v_add_f16_e32 v32, v9, v21
	v_sub_f16_e32 v9, v9, v21
	v_add_f16_e32 v21, v23, v29
	v_add_f16_e32 v33, v13, v19
	v_sub_f16_e32 v30, v39, v30
	v_sub_f16_e32 v23, v23, v29
	;; [unrolled: 1-line block ×3, first 2 shown]
	v_add_f16_e32 v19, v24, v28
	v_add_f16_e32 v29, v15, v17
	v_sub_f16_e32 v24, v28, v24
	v_sub_f16_e32 v15, v17, v15
	v_add_f16_e32 v17, v21, v26
	v_add_f16_e32 v28, v33, v32
	v_sub_f16_e32 v35, v21, v26
	v_sub_f16_e32 v36, v33, v32
	;; [unrolled: 1-line block ×6, first 2 shown]
	v_add_f16_e32 v37, v24, v23
	v_add_f16_e32 v38, v15, v13
	v_sub_f16_e32 v39, v24, v23
	v_sub_f16_e32 v40, v15, v13
	;; [unrolled: 1-line block ×4, first 2 shown]
	v_add_f16_e32 v17, v19, v17
	v_add_f16_e32 v19, v29, v28
	v_sub_f16_e32 v24, v30, v24
	v_sub_f16_e32 v15, v9, v15
	v_add_f16_e32 v28, v37, v30
	v_add_f16_e32 v9, v38, v9
	;; [unrolled: 1-line block ×3, first 2 shown]
	v_add_f16_sdwa v11, v11, v19 dst_sel:DWORD dst_unused:UNUSED_PAD src0_sel:WORD_1 src1_sel:DWORD
	v_mul_f16_e32 v26, 0x3a52, v26
	v_mul_f16_e32 v30, 0x3a52, v32
	s_movk_i32 s0, 0x2b26
	v_mul_f16_e32 v32, 0x2b26, v21
	v_mul_f16_e32 v37, 0x2b26, v33
	;; [unrolled: 1-line block ×4, first 2 shown]
	s_mov_b32 s1, 0xbb00
	v_mul_f16_e32 v40, 0xbb00, v23
	v_mul_f16_e32 v41, 0xbb00, v13
	s_mov_b32 s2, 0xbcab
	s_movk_i32 s3, 0x39e0
	s_mov_b32 s4, 0xb9e0
	s_mov_b32 s5, 0xb574
	s_movk_i32 s12, 0x3574
	v_fma_f16 v17, v17, s2, v29
	v_fma_f16 v19, v19, s2, v11
	v_fma_f16 v21, v21, s0, v26
	v_fma_f16 v33, v33, s0, v30
	v_fma_f16 v32, v35, s3, -v32
	v_fma_f16 v37, v36, s3, -v37
	;; [unrolled: 1-line block ×4, first 2 shown]
	v_fma_f16 v35, v24, s5, v38
	v_fma_f16 v36, v15, s5, v39
	v_fma_f16 v13, v13, s1, -v39
	v_fma_f16 v24, v24, s12, -v40
	;; [unrolled: 1-line block ×3, first 2 shown]
	s_mov_b32 s13, 0xb70e
	v_fma_f16 v23, v23, s1, -v38
	v_add_f16_e32 v21, v21, v17
	v_add_f16_e32 v33, v33, v19
	;; [unrolled: 1-line block ×6, first 2 shown]
	v_fma_f16 v26, v28, s13, v35
	v_fma_f16 v30, v9, s13, v36
	;; [unrolled: 1-line block ×6, first 2 shown]
	v_add_f16_e32 v15, v30, v21
	v_sub_f16_e32 v28, v33, v26
	v_add_f16_e32 v35, v9, v17
	v_sub_f16_e32 v36, v19, v24
	v_sub_f16_e32 v9, v17, v9
	v_add_f16_e32 v17, v24, v19
	v_sub_f16_e32 v19, v21, v30
	v_add_f16_e32 v21, v26, v33
	v_add_f16_e32 v24, v31, v25
	;; [unrolled: 1-line block ×3, first 2 shown]
	v_sub_f16_e32 v0, v0, v22
	v_add_f16_e32 v22, v10, v18
	v_add_f16_e32 v30, v1, v20
	v_sub_f16_e32 v25, v31, v25
	v_sub_f16_e32 v10, v10, v18
	;; [unrolled: 1-line block ×3, first 2 shown]
	v_add_f16_e32 v18, v14, v16
	v_add_f16_e32 v20, v2, v3
	v_sub_f16_e32 v14, v16, v14
	v_sub_f16_e32 v2, v3, v2
	v_add_f16_e32 v3, v22, v24
	v_add_f16_e32 v16, v30, v26
	v_sub_f16_e32 v38, v32, v13
	v_add_f16_e32 v39, v23, v37
	v_add_f16_e32 v13, v13, v32
	v_sub_f16_e32 v23, v37, v23
	v_sub_f16_e32 v31, v22, v24
	;; [unrolled: 1-line block ×7, first 2 shown]
	v_add_f16_e32 v33, v14, v10
	v_add_f16_e32 v37, v2, v1
	v_sub_f16_e32 v40, v14, v10
	v_sub_f16_e32 v41, v2, v1
	;; [unrolled: 1-line block ×4, first 2 shown]
	v_add_f16_e32 v3, v18, v3
	v_add_f16_e32 v16, v20, v16
	v_sub_f16_e32 v14, v25, v14
	v_sub_f16_e32 v2, v0, v2
	v_add_f16_e32 v18, v33, v25
	v_add_f16_e32 v0, v37, v0
	;; [unrolled: 1-line block ×3, first 2 shown]
	v_add_f16_sdwa v12, v12, v16 dst_sel:DWORD dst_unused:UNUSED_PAD src0_sel:WORD_1 src1_sel:DWORD
	v_mul_f16_e32 v24, 0x3a52, v24
	v_mul_f16_e32 v25, 0x3a52, v26
	v_mul_f16_e32 v26, 0x2b26, v22
	v_mul_f16_e32 v33, 0x2b26, v30
	v_mul_f16_e32 v37, 0x3846, v40
	v_mul_f16_e32 v40, 0x3846, v41
	v_mul_f16_e32 v41, 0xbb00, v10
	v_mul_f16_e32 v42, 0xbb00, v1
	v_pack_b32_f16 v11, v29, v11
	v_pack_b32_f16 v15, v15, v28
	v_fma_f16 v3, v3, s2, v20
	v_fma_f16 v16, v16, s2, v12
	;; [unrolled: 1-line block ×4, first 2 shown]
	v_fma_f16 v26, v31, s3, -v26
	v_fma_f16 v33, v32, s3, -v33
	;; [unrolled: 1-line block ×4, first 2 shown]
	v_fma_f16 v31, v14, s5, v37
	v_fma_f16 v32, v2, s5, v40
	v_fma_f16 v1, v1, s1, -v40
	v_fma_f16 v14, v14, s12, -v41
	v_fma_f16 v2, v2, s12, -v42
	s_barrier
	ds_write2_b32 v44, v11, v15 offset1:39
	v_pack_b32_f16 v11, v35, v36
	v_pack_b32_f16 v15, v38, v39
	v_fma_f16 v10, v10, s1, -v37
	v_add_f16_e32 v22, v22, v3
	v_add_f16_e32 v30, v30, v16
	;; [unrolled: 1-line block ×6, first 2 shown]
	v_fma_f16 v24, v18, s13, v31
	v_fma_f16 v25, v0, s13, v32
	;; [unrolled: 1-line block ×5, first 2 shown]
	ds_write2_b32 v44, v11, v15 offset0:78 offset1:117
	v_pack_b32_f16 v11, v13, v23
	v_pack_b32_f16 v9, v9, v17
	v_fma_f16 v10, v18, s13, v10
	v_add_f16_e32 v2, v25, v22
	v_sub_f16_e32 v18, v30, v24
	v_add_f16_e32 v31, v0, v3
	v_sub_f16_e32 v32, v16, v14
	ds_write2_b32 v44, v11, v9 offset0:156 offset1:195
	v_pack_b32_f16 v9, v19, v21
	v_pack_b32_f16 v11, v20, v12
	v_sub_f16_e32 v37, v26, v1
	v_add_f16_e32 v40, v10, v33
	v_add_f16_e32 v1, v1, v26
	v_sub_f16_e32 v10, v33, v10
	ds_write2_b32 v8, v9, v11 offset0:106 offset1:145
	v_pack_b32_f16 v2, v2, v18
	v_pack_b32_f16 v9, v31, v32
	v_sub_f16_e32 v0, v3, v0
	v_add_f16_e32 v3, v14, v16
	v_sub_f16_e32 v14, v22, v25
	v_add_f16_e32 v16, v24, v30
	ds_write2_b32 v7, v2, v9 offset0:56 offset1:95
	v_pack_b32_f16 v2, v37, v40
	v_pack_b32_f16 v1, v1, v10
	ds_write2_b32 v7, v2, v1 offset0:134 offset1:173
	v_pack_b32_f16 v0, v0, v3
	v_pack_b32_f16 v1, v14, v16
	ds_write2_b32 v7, v0, v1 offset0:212 offset1:251
	s_waitcnt lgkmcnt(0)
	s_barrier
	ds_read2_b32 v[0:1], v44 offset1:39
	ds_read2_b32 v[2:3], v8 offset0:106 offset1:145
	ds_read2_b32 v[9:10], v7 offset0:56 offset1:95
	;; [unrolled: 1-line block ×6, first 2 shown]
	s_waitcnt lgkmcnt(5)
	v_lshrrev_b32_e32 v20, 16, v3
	v_mul_f16_sdwa v35, v69, v20 dst_sel:DWORD dst_unused:UNUSED_PAD src0_sel:WORD_1 src1_sel:DWORD
	s_waitcnt lgkmcnt(4)
	v_lshrrev_b32_e32 v22, 16, v9
	v_fma_f16 v35, v69, v3, v35
	v_mul_f16_sdwa v3, v69, v3 dst_sel:DWORD dst_unused:UNUSED_PAD src0_sel:WORD_1 src1_sel:DWORD
	v_fma_f16 v3, v69, v20, -v3
	v_mul_f16_sdwa v20, v70, v22 dst_sel:DWORD dst_unused:UNUSED_PAD src0_sel:WORD_1 src1_sel:DWORD
	v_lshrrev_b32_e32 v24, 16, v10
	v_fma_f16 v20, v70, v9, v20
	v_mul_f16_sdwa v9, v70, v9 dst_sel:DWORD dst_unused:UNUSED_PAD src0_sel:WORD_1 src1_sel:DWORD
	v_fma_f16 v9, v70, v22, -v9
	v_mul_f16_sdwa v22, v71, v24 dst_sel:DWORD dst_unused:UNUSED_PAD src0_sel:WORD_1 src1_sel:DWORD
	s_waitcnt lgkmcnt(2)
	v_lshrrev_b32_e32 v26, 16, v13
	v_fma_f16 v22, v71, v10, v22
	v_mul_f16_sdwa v10, v71, v10 dst_sel:DWORD dst_unused:UNUSED_PAD src0_sel:WORD_1 src1_sel:DWORD
	v_fma_f16 v10, v71, v24, -v10
	v_mul_f16_sdwa v24, v72, v26 dst_sel:DWORD dst_unused:UNUSED_PAD src0_sel:WORD_1 src1_sel:DWORD
	v_lshrrev_b32_e32 v29, 16, v14
	v_fma_f16 v24, v72, v13, v24
	v_mul_f16_sdwa v13, v72, v13 dst_sel:DWORD dst_unused:UNUSED_PAD src0_sel:WORD_1 src1_sel:DWORD
	v_fma_f16 v13, v72, v26, -v13
	;; [unrolled: 11-line block ×3, first 2 shown]
	v_mul_f16_sdwa v31, v75, v33 dst_sel:DWORD dst_unused:UNUSED_PAD src0_sel:WORD_1 src1_sel:DWORD
	v_lshrrev_b32_e32 v19, 16, v0
	v_fma_f16 v31, v75, v18, v31
	v_mul_f16_sdwa v18, v75, v18 dst_sel:DWORD dst_unused:UNUSED_PAD src0_sel:WORD_1 src1_sel:DWORD
	v_fma_f16 v18, v75, v33, -v18
	v_sub_f16_e32 v33, v0, v35
	v_sub_f16_e32 v3, v19, v3
	v_lshrrev_b32_e32 v21, 16, v1
	v_lshrrev_b32_e32 v23, 16, v11
	v_fma_f16 v0, v0, 2.0, -v33
	v_fma_f16 v19, v19, 2.0, -v3
	v_sub_f16_e32 v20, v1, v20
	v_sub_f16_e32 v9, v21, v9
	v_sub_f16_e32 v22, v11, v22
	v_sub_f16_e32 v10, v23, v10
	v_pack_b32_f16 v0, v0, v19
	v_lshrrev_b32_e32 v25, 16, v12
	v_lshrrev_b32_e32 v28, 16, v15
	v_fma_f16 v1, v1, 2.0, -v20
	v_fma_f16 v21, v21, 2.0, -v9
	;; [unrolled: 1-line block ×4, first 2 shown]
	ds_write_b32 v44, v0
	v_pack_b32_f16 v0, v33, v3
	v_pack_b32_f16 v3, v20, v9
	v_add_u32_e32 v9, 0x400, v60
	v_sub_f16_e32 v24, v12, v24
	v_sub_f16_e32 v13, v25, v13
	;; [unrolled: 1-line block ×4, first 2 shown]
	v_pack_b32_f16 v1, v1, v21
	ds_write2_b32 v9, v0, v3 offset0:17 offset1:56
	v_pack_b32_f16 v0, v11, v23
	v_lshrrev_b32_e32 v30, 16, v16
	v_fma_f16 v12, v12, 2.0, -v24
	v_fma_f16 v25, v25, 2.0, -v13
	;; [unrolled: 1-line block ×4, first 2 shown]
	ds_write2_b32 v60, v1, v0 offset0:39 offset1:78
	v_pack_b32_f16 v0, v22, v10
	v_pack_b32_f16 v3, v24, v13
	v_sub_f16_e32 v29, v16, v29
	v_sub_f16_e32 v17, v30, v17
	v_pack_b32_f16 v1, v12, v25
	ds_write2_b32 v9, v0, v3 offset0:95 offset1:134
	v_pack_b32_f16 v0, v15, v28
	v_lshrrev_b32_e32 v32, 16, v2
	v_fma_f16 v16, v16, 2.0, -v29
	v_fma_f16 v30, v30, 2.0, -v17
	ds_write2_b32 v60, v1, v0 offset0:117 offset1:156
	v_pack_b32_f16 v0, v26, v14
	v_sub_f16_e32 v31, v2, v31
	v_sub_f16_e32 v18, v32, v18
	ds_write_b32 v60, v0 offset:1716
	v_pack_b32_f16 v0, v16, v30
	v_fma_f16 v2, v2, 2.0, -v31
	v_fma_f16 v32, v32, 2.0, -v18
	ds_write_b32 v60, v0 offset:780
	v_pack_b32_f16 v0, v29, v17
	ds_write_b32 v34, v0 offset:1092
	v_pack_b32_f16 v0, v2, v32
	;; [unrolled: 2-line block ×3, first 2 shown]
	ds_write_b32 v27, v0 offset:1092
	s_waitcnt lgkmcnt(0)
	s_barrier
	ds_read2_b32 v[0:1], v44 offset1:42
	s_mov_b32 s12, 0x1e01e01e
	s_mov_b32 s13, 0x3f5e01e0
	v_mad_u64_u32 v[9:10], s[0:1], s10, v6, 0
	s_waitcnt lgkmcnt(0)
	v_lshrrev_b32_e32 v12, 16, v0
	v_mul_f16_sdwa v2, v58, v12 dst_sel:DWORD dst_unused:UNUSED_PAD src0_sel:WORD_1 src1_sel:DWORD
	v_fma_f16 v2, v58, v0, v2
	v_cvt_f32_f16_e32 v2, v2
	s_movk_i32 s15, 0x1ff
	v_mad_u64_u32 v[10:11], s[0:1], s11, v6, v[10:11]
	v_cvt_f64_f32_e32 v[2:3], v2
	s_movk_i32 s10, 0xffe
	v_mul_f16_sdwa v0, v58, v0 dst_sel:DWORD dst_unused:UNUSED_PAD src0_sel:WORD_1 src1_sel:DWORD
	v_fma_f16 v0, v58, v12, -v0
	v_mul_f64 v[2:3], v[2:3], s[12:13]
	v_cvt_f32_f16_e32 v0, v0
	s_movk_i32 s11, 0x40f
	s_mov_b32 s14, 0x8000
	v_lshlrev_b64 v[9:10], 2, v[9:10]
	v_and_or_b32 v2, v3, s15, v2
	v_cmp_ne_u32_e64 s[0:1], 0, v2
	v_cndmask_b32_e64 v2, 0, 1, s[0:1]
	v_lshrrev_b32_e32 v6, 8, v3
	v_bfe_u32 v11, v3, 20, 11
	v_and_or_b32 v6, v6, s10, v2
	v_sub_u32_e32 v13, 0x3f1, v11
	v_or_b32_e32 v2, 0x1000, v6
	v_med3_i32 v13, v13, 0, 13
	v_lshrrev_b32_e32 v14, v13, v2
	v_lshlrev_b32_e32 v13, v13, v14
	v_cmp_ne_u32_e64 s[0:1], v13, v2
	v_cndmask_b32_e64 v2, 0, 1, s[0:1]
	v_add_u32_e32 v13, 0xfffffc10, v11
	v_or_b32_e32 v2, v14, v2
	v_lshl_or_b32 v11, v13, 12, v6
	v_cmp_gt_i32_e64 s[0:1], 1, v13
	v_cndmask_b32_e64 v2, v11, v2, s[0:1]
	v_and_b32_e32 v11, 7, v2
	v_cmp_lt_i32_e64 s[0:1], 5, v11
	v_cmp_eq_u32_e64 s[2:3], 3, v11
	v_cvt_f64_f32_e32 v[11:12], v0
	v_lshrrev_b32_e32 v2, 2, v2
	s_or_b64 s[0:1], s[2:3], s[0:1]
	v_addc_co_u32_e64 v14, s[0:1], 0, v2, s[0:1]
	v_mul_f64 v[11:12], v[11:12], s[12:13]
	v_mov_b32_e32 v2, 0x7c00
	v_cmp_gt_i32_e64 s[0:1], 31, v13
	v_cndmask_b32_e64 v0, v2, v14, s[0:1]
	v_cmp_ne_u32_e64 s[0:1], 0, v6
	v_cndmask_b32_e64 v6, 0, 1, s[0:1]
	v_lshl_or_b32 v6, v6, 9, v2
	v_cmp_eq_u32_e64 s[0:1], s11, v13
	v_cndmask_b32_e64 v0, v0, v6, s[0:1]
	v_lshrrev_b32_e32 v3, 16, v3
	v_and_or_b32 v3, v3, s14, v0
	v_and_or_b32 v0, v12, s15, v11
	v_cmp_ne_u32_e64 s[0:1], 0, v0
	v_cndmask_b32_e64 v0, 0, 1, s[0:1]
	v_lshrrev_b32_e32 v6, 8, v12
	v_bfe_u32 v11, v12, 20, 11
	v_and_or_b32 v0, v6, s10, v0
	v_sub_u32_e32 v13, 0x3f1, v11
	v_or_b32_e32 v6, 0x1000, v0
	v_med3_i32 v13, v13, 0, 13
	v_lshrrev_b32_e32 v14, v13, v6
	v_lshlrev_b32_e32 v13, v13, v14
	v_cmp_ne_u32_e64 s[0:1], v13, v6
	v_cndmask_b32_e64 v6, 0, 1, s[0:1]
	v_add_u32_e32 v11, 0xfffffc10, v11
	v_or_b32_e32 v6, v14, v6
	v_lshl_or_b32 v13, v11, 12, v0
	v_cmp_gt_i32_e64 s[0:1], 1, v11
	v_cndmask_b32_e64 v6, v13, v6, s[0:1]
	v_and_b32_e32 v13, 7, v6
	v_cmp_lt_i32_e64 s[0:1], 5, v13
	v_cmp_eq_u32_e64 s[2:3], 3, v13
	v_lshrrev_b32_e32 v6, 2, v6
	s_or_b64 s[0:1], s[2:3], s[0:1]
	v_addc_co_u32_e64 v6, s[0:1], 0, v6, s[0:1]
	v_cmp_gt_i32_e64 s[0:1], 31, v11
	v_cndmask_b32_e64 v6, v2, v6, s[0:1]
	v_cmp_ne_u32_e64 s[0:1], 0, v0
	v_cndmask_b32_e64 v0, 0, 1, s[0:1]
	v_mad_u64_u32 v[13:14], s[0:1], s8, v56, 0
	v_lshl_or_b32 v0, v0, 9, v2
	v_cmp_eq_u32_e64 s[0:1], s11, v11
	v_cndmask_b32_e64 v6, v6, v0, s[0:1]
	v_mov_b32_e32 v0, v14
	v_lshrrev_b32_e32 v15, 16, v12
	v_mad_u64_u32 v[11:12], s[0:1], s9, v56, v[0:1]
	v_lshrrev_b32_e32 v0, 16, v1
	v_mul_f16_sdwa v12, v57, v0 dst_sel:DWORD dst_unused:UNUSED_PAD src0_sel:WORD_1 src1_sel:DWORD
	v_fma_f16 v12, v57, v1, v12
	v_cvt_f32_f16_e32 v12, v12
	v_mov_b32_e32 v14, v11
	v_and_or_b32 v6, v15, s14, v6
	v_and_b32_e32 v3, 0xffff, v3
	v_cvt_f64_f32_e32 v[11:12], v12
	v_lshl_or_b32 v3, v6, 16, v3
	v_mov_b32_e32 v6, s7
	v_add_co_u32_e64 v15, s[0:1], s6, v9
	v_mul_f64 v[11:12], v[11:12], s[12:13]
	v_addc_co_u32_e64 v6, s[0:1], v6, v10, s[0:1]
	v_lshlrev_b64 v[9:10], 2, v[13:14]
	v_mul_f16_sdwa v1, v57, v1 dst_sel:DWORD dst_unused:UNUSED_PAD src0_sel:WORD_1 src1_sel:DWORD
	v_add_co_u32_e64 v9, s[0:1], v15, v9
	v_addc_co_u32_e64 v10, s[0:1], v6, v10, s[0:1]
	global_store_dword v[9:10], v3, off
	v_and_or_b32 v3, v12, s15, v11
	v_cmp_ne_u32_e64 s[0:1], 0, v3
	v_fma_f16 v0, v57, v0, -v1
	v_cndmask_b32_e64 v3, 0, 1, s[0:1]
	v_lshrrev_b32_e32 v6, 8, v12
	v_bfe_u32 v11, v12, 20, 11
	v_cvt_f32_f16_e32 v0, v0
	v_and_or_b32 v3, v6, s10, v3
	v_sub_u32_e32 v13, 0x3f1, v11
	v_or_b32_e32 v6, 0x1000, v3
	v_med3_i32 v13, v13, 0, 13
	v_lshrrev_b32_e32 v14, v13, v6
	v_lshlrev_b32_e32 v13, v13, v14
	v_cvt_f64_f32_e32 v[0:1], v0
	v_cmp_ne_u32_e64 s[0:1], v13, v6
	v_cndmask_b32_e64 v6, 0, 1, s[0:1]
	v_add_u32_e32 v11, 0xfffffc10, v11
	v_or_b32_e32 v6, v14, v6
	v_lshl_or_b32 v13, v11, 12, v3
	v_cmp_gt_i32_e64 s[0:1], 1, v11
	v_cndmask_b32_e64 v6, v13, v6, s[0:1]
	v_mul_f64 v[0:1], v[0:1], s[12:13]
	v_and_b32_e32 v13, 7, v6
	v_cmp_lt_i32_e64 s[0:1], 5, v13
	v_cmp_eq_u32_e64 s[2:3], 3, v13
	v_lshrrev_b32_e32 v6, 2, v6
	s_or_b64 s[0:1], s[2:3], s[0:1]
	v_addc_co_u32_e64 v6, s[0:1], 0, v6, s[0:1]
	v_cmp_gt_i32_e64 s[0:1], 31, v11
	v_cndmask_b32_e64 v6, v2, v6, s[0:1]
	v_cmp_ne_u32_e64 s[0:1], 0, v3
	v_cndmask_b32_e64 v3, 0, 1, s[0:1]
	v_lshl_or_b32 v3, v3, 9, v2
	v_cmp_eq_u32_e64 s[0:1], s11, v11
	v_and_or_b32 v0, v1, s15, v0
	v_cndmask_b32_e64 v3, v6, v3, s[0:1]
	v_lshrrev_b32_e32 v6, 16, v12
	v_cmp_ne_u32_e64 s[0:1], 0, v0
	v_and_or_b32 v3, v6, s14, v3
	v_cndmask_b32_e64 v0, 0, 1, s[0:1]
	v_lshrrev_b32_e32 v6, 8, v1
	v_bfe_u32 v11, v1, 20, 11
	v_and_or_b32 v0, v6, s10, v0
	v_sub_u32_e32 v12, 0x3f1, v11
	v_or_b32_e32 v6, 0x1000, v0
	v_med3_i32 v12, v12, 0, 13
	v_lshrrev_b32_e32 v13, v12, v6
	v_lshlrev_b32_e32 v12, v12, v13
	v_cmp_ne_u32_e64 s[0:1], v12, v6
	v_cndmask_b32_e64 v6, 0, 1, s[0:1]
	v_or_b32_e32 v6, v13, v6
	v_add_u32_e32 v13, 0xfffffc10, v11
	v_lshl_or_b32 v11, v13, 12, v0
	v_cmp_gt_i32_e64 s[0:1], 1, v13
	v_cndmask_b32_e64 v6, v11, v6, s[0:1]
	v_and_b32_e32 v11, 7, v6
	v_cmp_lt_i32_e64 s[0:1], 5, v11
	v_cmp_eq_u32_e64 s[2:3], 3, v11
	v_lshrrev_b32_e32 v6, 2, v6
	s_or_b64 s[0:1], s[2:3], s[0:1]
	v_addc_co_u32_e64 v6, s[0:1], 0, v6, s[0:1]
	ds_read2_b32 v[11:12], v44 offset0:84 offset1:126
	v_cmp_gt_i32_e64 s[0:1], 31, v13
	v_cndmask_b32_e64 v6, v2, v6, s[0:1]
	v_cmp_ne_u32_e64 s[0:1], 0, v0
	v_cndmask_b32_e64 v0, 0, 1, s[0:1]
	v_lshl_or_b32 v0, v0, 9, v2
	v_cmp_eq_u32_e64 s[0:1], s11, v13
	v_cndmask_b32_e64 v0, v6, v0, s[0:1]
	v_lshrrev_b32_e32 v1, 16, v1
	s_waitcnt lgkmcnt(0)
	v_lshrrev_b32_e32 v15, 16, v11
	v_and_or_b32 v6, v1, s14, v0
	v_mul_f16_sdwa v0, v55, v15 dst_sel:DWORD dst_unused:UNUSED_PAD src0_sel:WORD_1 src1_sel:DWORD
	v_fma_f16 v0, v55, v11, v0
	v_cvt_f32_f16_e32 v0, v0
	s_mul_i32 s0, s9, 42
	s_mul_hi_u32 s1, s8, 42
	s_add_i32 s1, s1, s0
	v_cvt_f64_f32_e32 v[0:1], v0
	s_mul_i32 s0, s8, 42
	s_lshl_b64 s[6:7], s[0:1], 2
	v_add_co_u32_e64 v9, s[0:1], s6, v9
	v_mul_f64 v[13:14], v[0:1], s[12:13]
	v_mov_b32_e32 v1, s7
	v_and_b32_e32 v3, 0xffff, v3
	v_addc_co_u32_e64 v10, s[0:1], v10, v1, s[0:1]
	v_lshl_or_b32 v3, v6, 16, v3
	global_store_dword v[9:10], v3, off
	v_mul_f16_sdwa v11, v55, v11 dst_sel:DWORD dst_unused:UNUSED_PAD src0_sel:WORD_1 src1_sel:DWORD
	v_and_or_b32 v0, v14, s15, v13
	v_cmp_ne_u32_e64 s[0:1], 0, v0
	v_cndmask_b32_e64 v0, 0, 1, s[0:1]
	v_lshrrev_b32_e32 v3, 8, v14
	v_bfe_u32 v6, v14, 20, 11
	v_and_or_b32 v0, v3, s10, v0
	v_sub_u32_e32 v13, 0x3f1, v6
	v_or_b32_e32 v3, 0x1000, v0
	v_med3_i32 v13, v13, 0, 13
	v_fma_f16 v11, v55, v15, -v11
	v_lshrrev_b32_e32 v16, v13, v3
	v_cvt_f32_f16_e32 v11, v11
	v_lshlrev_b32_e32 v13, v13, v16
	v_cmp_ne_u32_e64 s[0:1], v13, v3
	v_cndmask_b32_e64 v3, 0, 1, s[0:1]
	v_or_b32_e32 v3, v16, v3
	v_add_u32_e32 v6, 0xfffffc10, v6
	v_cvt_f64_f32_e32 v[15:16], v11
	v_lshl_or_b32 v13, v6, 12, v0
	v_cmp_gt_i32_e64 s[0:1], 1, v6
	v_cndmask_b32_e64 v3, v13, v3, s[0:1]
	v_and_b32_e32 v13, 7, v3
	v_cmp_lt_i32_e64 s[0:1], 5, v13
	v_cmp_eq_u32_e64 s[2:3], 3, v13
	v_mul_f64 v[15:16], v[15:16], s[12:13]
	v_lshrrev_b32_e32 v3, 2, v3
	s_or_b64 s[0:1], s[2:3], s[0:1]
	v_addc_co_u32_e64 v3, s[0:1], 0, v3, s[0:1]
	v_cmp_gt_i32_e64 s[0:1], 31, v6
	v_cndmask_b32_e64 v3, v2, v3, s[0:1]
	v_cmp_ne_u32_e64 s[0:1], 0, v0
	v_cndmask_b32_e64 v0, 0, 1, s[0:1]
	v_lshl_or_b32 v0, v0, 9, v2
	v_cmp_eq_u32_e64 s[0:1], s11, v6
	v_cndmask_b32_e64 v0, v3, v0, s[0:1]
	v_lshrrev_b32_e32 v3, 16, v14
	v_and_or_b32 v0, v3, s14, v0
	v_and_or_b32 v3, v16, s15, v15
	v_cmp_ne_u32_e64 s[0:1], 0, v3
	v_cndmask_b32_e64 v3, 0, 1, s[0:1]
	v_lshrrev_b32_e32 v6, 8, v16
	v_bfe_u32 v11, v16, 20, 11
	v_and_or_b32 v3, v6, s10, v3
	v_sub_u32_e32 v13, 0x3f1, v11
	v_or_b32_e32 v6, 0x1000, v3
	v_med3_i32 v13, v13, 0, 13
	v_lshrrev_b32_e32 v14, v13, v6
	v_lshlrev_b32_e32 v13, v13, v14
	v_cmp_ne_u32_e64 s[0:1], v13, v6
	v_cndmask_b32_e64 v6, 0, 1, s[0:1]
	v_add_u32_e32 v11, 0xfffffc10, v11
	v_or_b32_e32 v6, v14, v6
	v_lshl_or_b32 v13, v11, 12, v3
	v_cmp_gt_i32_e64 s[0:1], 1, v11
	v_cndmask_b32_e64 v6, v13, v6, s[0:1]
	v_and_b32_e32 v13, 7, v6
	v_lshrrev_b32_e32 v15, 16, v12
	v_cmp_lt_i32_e64 s[0:1], 5, v13
	v_cmp_eq_u32_e64 s[2:3], 3, v13
	v_mul_f16_sdwa v13, v54, v15 dst_sel:DWORD dst_unused:UNUSED_PAD src0_sel:WORD_1 src1_sel:DWORD
	v_fma_f16 v13, v54, v12, v13
	v_cvt_f32_f16_e32 v13, v13
	v_lshrrev_b32_e32 v6, 2, v6
	s_or_b64 s[0:1], s[2:3], s[0:1]
	v_addc_co_u32_e64 v6, s[0:1], 0, v6, s[0:1]
	v_cvt_f64_f32_e32 v[13:14], v13
	v_cmp_gt_i32_e64 s[0:1], 31, v11
	v_cndmask_b32_e64 v6, v2, v6, s[0:1]
	v_cmp_ne_u32_e64 s[0:1], 0, v3
	v_mul_f64 v[13:14], v[13:14], s[12:13]
	v_cndmask_b32_e64 v3, 0, 1, s[0:1]
	v_lshl_or_b32 v3, v3, 9, v2
	v_cmp_eq_u32_e64 s[0:1], s11, v11
	v_cndmask_b32_e64 v3, v6, v3, s[0:1]
	v_lshrrev_b32_e32 v6, 16, v16
	v_and_or_b32 v3, v6, s14, v3
	v_and_b32_e32 v0, 0xffff, v0
	v_add_co_u32_e64 v9, s[0:1], s6, v9
	v_lshl_or_b32 v0, v3, 16, v0
	v_addc_co_u32_e64 v10, s[0:1], v10, v1, s[0:1]
	global_store_dword v[9:10], v0, off
	v_and_or_b32 v0, v14, s15, v13
	v_cmp_ne_u32_e64 s[0:1], 0, v0
	v_cndmask_b32_e64 v0, 0, 1, s[0:1]
	v_lshrrev_b32_e32 v3, 8, v14
	v_bfe_u32 v6, v14, 20, 11
	v_and_or_b32 v0, v3, s10, v0
	v_sub_u32_e32 v11, 0x3f1, v6
	v_or_b32_e32 v3, 0x1000, v0
	v_med3_i32 v11, v11, 0, 13
	v_lshrrev_b32_e32 v13, v11, v3
	v_lshlrev_b32_e32 v11, v11, v13
	v_mul_f16_sdwa v12, v54, v12 dst_sel:DWORD dst_unused:UNUSED_PAD src0_sel:WORD_1 src1_sel:DWORD
	v_cmp_ne_u32_e64 s[0:1], v11, v3
	v_fma_f16 v12, v54, v15, -v12
	v_cndmask_b32_e64 v3, 0, 1, s[0:1]
	v_add_u32_e32 v6, 0xfffffc10, v6
	v_cvt_f32_f16_e32 v12, v12
	v_or_b32_e32 v3, v13, v3
	v_lshl_or_b32 v11, v6, 12, v0
	v_cmp_gt_i32_e64 s[0:1], 1, v6
	v_cndmask_b32_e64 v3, v11, v3, s[0:1]
	v_and_b32_e32 v11, 7, v3
	v_cmp_lt_i32_e64 s[0:1], 5, v11
	v_cmp_eq_u32_e64 s[2:3], 3, v11
	v_cvt_f64_f32_e32 v[11:12], v12
	v_lshrrev_b32_e32 v3, 2, v3
	s_or_b64 s[0:1], s[2:3], s[0:1]
	v_addc_co_u32_e64 v3, s[0:1], 0, v3, s[0:1]
	v_mul_f64 v[11:12], v[11:12], s[12:13]
	v_cmp_gt_i32_e64 s[0:1], 31, v6
	v_cndmask_b32_e64 v3, v2, v3, s[0:1]
	v_cmp_ne_u32_e64 s[0:1], 0, v0
	v_cndmask_b32_e64 v0, 0, 1, s[0:1]
	v_lshl_or_b32 v0, v0, 9, v2
	v_cmp_eq_u32_e64 s[0:1], s11, v6
	v_cndmask_b32_e64 v0, v3, v0, s[0:1]
	v_lshrrev_b32_e32 v3, 16, v14
	v_and_or_b32 v0, v3, s14, v0
	v_and_or_b32 v3, v12, s15, v11
	v_cmp_ne_u32_e64 s[0:1], 0, v3
	v_cndmask_b32_e64 v3, 0, 1, s[0:1]
	v_lshrrev_b32_e32 v6, 8, v12
	v_bfe_u32 v11, v12, 20, 11
	v_and_or_b32 v3, v6, s10, v3
	v_sub_u32_e32 v13, 0x3f1, v11
	v_or_b32_e32 v6, 0x1000, v3
	v_med3_i32 v13, v13, 0, 13
	v_lshrrev_b32_e32 v14, v13, v6
	v_lshlrev_b32_e32 v13, v13, v14
	v_cmp_ne_u32_e64 s[0:1], v13, v6
	v_cndmask_b32_e64 v6, 0, 1, s[0:1]
	v_add_u32_e32 v11, 0xfffffc10, v11
	v_or_b32_e32 v6, v14, v6
	v_lshl_or_b32 v13, v11, 12, v3
	v_cmp_gt_i32_e64 s[0:1], 1, v11
	v_cndmask_b32_e64 v6, v13, v6, s[0:1]
	v_and_b32_e32 v13, 7, v6
	v_cmp_lt_i32_e64 s[0:1], 5, v13
	v_cmp_eq_u32_e64 s[2:3], 3, v13
	ds_read2_b32 v[13:14], v44 offset0:168 offset1:210
	v_lshrrev_b32_e32 v6, 2, v6
	s_or_b64 s[0:1], s[2:3], s[0:1]
	v_addc_co_u32_e64 v6, s[0:1], 0, v6, s[0:1]
	s_waitcnt lgkmcnt(0)
	v_lshrrev_b32_e32 v17, 16, v13
	v_mul_f16_sdwa v15, v53, v17 dst_sel:DWORD dst_unused:UNUSED_PAD src0_sel:WORD_1 src1_sel:DWORD
	v_fma_f16 v15, v53, v13, v15
	v_cvt_f32_f16_e32 v15, v15
	v_cmp_gt_i32_e64 s[0:1], 31, v11
	v_cndmask_b32_e64 v6, v2, v6, s[0:1]
	v_cmp_ne_u32_e64 s[0:1], 0, v3
	v_cvt_f64_f32_e32 v[15:16], v15
	v_cndmask_b32_e64 v3, 0, 1, s[0:1]
	v_lshl_or_b32 v3, v3, 9, v2
	v_cmp_eq_u32_e64 s[0:1], s11, v11
	v_cndmask_b32_e64 v3, v6, v3, s[0:1]
	v_lshrrev_b32_e32 v6, 16, v12
	v_mul_f64 v[11:12], v[15:16], s[12:13]
	v_and_or_b32 v3, v6, s14, v3
	v_and_b32_e32 v0, 0xffff, v0
	v_add_co_u32_e64 v9, s[0:1], s6, v9
	v_lshl_or_b32 v0, v3, 16, v0
	v_addc_co_u32_e64 v10, s[0:1], v10, v1, s[0:1]
	global_store_dword v[9:10], v0, off
	v_and_or_b32 v0, v12, s15, v11
	v_cmp_ne_u32_e64 s[0:1], 0, v0
	v_cndmask_b32_e64 v0, 0, 1, s[0:1]
	v_lshrrev_b32_e32 v3, 8, v12
	v_bfe_u32 v6, v12, 20, 11
	v_and_or_b32 v0, v3, s10, v0
	v_sub_u32_e32 v11, 0x3f1, v6
	v_mul_f16_sdwa v13, v53, v13 dst_sel:DWORD dst_unused:UNUSED_PAD src0_sel:WORD_1 src1_sel:DWORD
	v_or_b32_e32 v3, 0x1000, v0
	v_med3_i32 v11, v11, 0, 13
	v_fma_f16 v13, v53, v17, -v13
	v_lshrrev_b32_e32 v15, v11, v3
	v_cvt_f32_f16_e32 v13, v13
	v_lshlrev_b32_e32 v11, v11, v15
	v_cmp_ne_u32_e64 s[0:1], v11, v3
	v_cndmask_b32_e64 v3, 0, 1, s[0:1]
	v_or_b32_e32 v3, v15, v3
	v_add_u32_e32 v6, 0xfffffc10, v6
	v_cvt_f64_f32_e32 v[15:16], v13
	v_lshl_or_b32 v11, v6, 12, v0
	v_cmp_gt_i32_e64 s[0:1], 1, v6
	v_cndmask_b32_e64 v3, v11, v3, s[0:1]
	v_and_b32_e32 v11, 7, v3
	v_cmp_lt_i32_e64 s[0:1], 5, v11
	v_cmp_eq_u32_e64 s[2:3], 3, v11
	v_mul_f64 v[15:16], v[15:16], s[12:13]
	v_lshrrev_b32_e32 v3, 2, v3
	s_or_b64 s[0:1], s[2:3], s[0:1]
	v_addc_co_u32_e64 v3, s[0:1], 0, v3, s[0:1]
	v_cmp_gt_i32_e64 s[0:1], 31, v6
	v_cndmask_b32_e64 v3, v2, v3, s[0:1]
	v_cmp_ne_u32_e64 s[0:1], 0, v0
	v_cndmask_b32_e64 v0, 0, 1, s[0:1]
	v_lshl_or_b32 v0, v0, 9, v2
	v_cmp_eq_u32_e64 s[0:1], s11, v6
	v_cndmask_b32_e64 v0, v3, v0, s[0:1]
	v_lshrrev_b32_e32 v3, 16, v12
	v_and_or_b32 v0, v3, s14, v0
	v_and_or_b32 v3, v16, s15, v15
	v_cmp_ne_u32_e64 s[0:1], 0, v3
	v_cndmask_b32_e64 v3, 0, 1, s[0:1]
	v_lshrrev_b32_e32 v6, 8, v16
	v_bfe_u32 v11, v16, 20, 11
	v_and_or_b32 v3, v6, s10, v3
	v_sub_u32_e32 v12, 0x3f1, v11
	v_or_b32_e32 v6, 0x1000, v3
	v_med3_i32 v12, v12, 0, 13
	v_lshrrev_b32_e32 v13, v12, v6
	v_lshlrev_b32_e32 v12, v12, v13
	v_cmp_ne_u32_e64 s[0:1], v12, v6
	v_cndmask_b32_e64 v6, 0, 1, s[0:1]
	v_or_b32_e32 v6, v13, v6
	v_add_u32_e32 v13, 0xfffffc10, v11
	v_lshl_or_b32 v11, v13, 12, v3
	v_cmp_gt_i32_e64 s[0:1], 1, v13
	v_cndmask_b32_e64 v6, v11, v6, s[0:1]
	v_and_b32_e32 v11, 7, v6
	v_lshrrev_b32_e32 v15, 16, v14
	v_cmp_lt_i32_e64 s[0:1], 5, v11
	v_cmp_eq_u32_e64 s[2:3], 3, v11
	v_mul_f16_sdwa v11, v52, v15 dst_sel:DWORD dst_unused:UNUSED_PAD src0_sel:WORD_1 src1_sel:DWORD
	v_fma_f16 v11, v52, v14, v11
	v_cvt_f32_f16_e32 v11, v11
	v_lshrrev_b32_e32 v6, 2, v6
	s_or_b64 s[0:1], s[2:3], s[0:1]
	v_addc_co_u32_e64 v6, s[0:1], 0, v6, s[0:1]
	v_cvt_f64_f32_e32 v[11:12], v11
	v_cmp_gt_i32_e64 s[0:1], 31, v13
	v_cndmask_b32_e64 v6, v2, v6, s[0:1]
	v_cmp_ne_u32_e64 s[0:1], 0, v3
	v_mul_f64 v[11:12], v[11:12], s[12:13]
	v_cndmask_b32_e64 v3, 0, 1, s[0:1]
	v_lshl_or_b32 v3, v3, 9, v2
	v_cmp_eq_u32_e64 s[0:1], s11, v13
	v_cndmask_b32_e64 v3, v6, v3, s[0:1]
	v_lshrrev_b32_e32 v6, 16, v16
	v_and_or_b32 v3, v6, s14, v3
	v_and_b32_e32 v0, 0xffff, v0
	v_add_co_u32_e64 v9, s[0:1], s6, v9
	v_lshl_or_b32 v0, v3, 16, v0
	v_addc_co_u32_e64 v10, s[0:1], v10, v1, s[0:1]
	global_store_dword v[9:10], v0, off
	v_and_or_b32 v0, v12, s15, v11
	v_cmp_ne_u32_e64 s[0:1], 0, v0
	v_cndmask_b32_e64 v0, 0, 1, s[0:1]
	v_lshrrev_b32_e32 v3, 8, v12
	v_bfe_u32 v6, v12, 20, 11
	v_and_or_b32 v0, v3, s10, v0
	v_sub_u32_e32 v11, 0x3f1, v6
	v_or_b32_e32 v3, 0x1000, v0
	v_med3_i32 v11, v11, 0, 13
	v_lshrrev_b32_e32 v13, v11, v3
	v_lshlrev_b32_e32 v11, v11, v13
	v_cmp_ne_u32_e64 s[0:1], v11, v3
	v_cndmask_b32_e64 v3, 0, 1, s[0:1]
	v_or_b32_e32 v3, v13, v3
	v_mul_f16_sdwa v13, v52, v14 dst_sel:DWORD dst_unused:UNUSED_PAD src0_sel:WORD_1 src1_sel:DWORD
	v_fma_f16 v13, v52, v15, -v13
	v_cvt_f32_f16_e32 v13, v13
	v_add_u32_e32 v6, 0xfffffc10, v6
	v_lshl_or_b32 v11, v6, 12, v0
	v_cmp_gt_i32_e64 s[0:1], 1, v6
	v_cvt_f64_f32_e32 v[13:14], v13
	v_cndmask_b32_e64 v3, v11, v3, s[0:1]
	v_and_b32_e32 v11, 7, v3
	v_cmp_lt_i32_e64 s[0:1], 5, v11
	v_cmp_eq_u32_e64 s[2:3], 3, v11
	v_mul_f64 v[13:14], v[13:14], s[12:13]
	v_lshrrev_b32_e32 v3, 2, v3
	s_or_b64 s[0:1], s[2:3], s[0:1]
	v_addc_co_u32_e64 v3, s[0:1], 0, v3, s[0:1]
	v_cmp_gt_i32_e64 s[0:1], 31, v6
	v_cndmask_b32_e64 v3, v2, v3, s[0:1]
	v_cmp_ne_u32_e64 s[0:1], 0, v0
	v_cndmask_b32_e64 v0, 0, 1, s[0:1]
	v_lshl_or_b32 v0, v0, 9, v2
	v_cmp_eq_u32_e64 s[0:1], s11, v6
	v_cndmask_b32_e64 v0, v3, v0, s[0:1]
	v_lshrrev_b32_e32 v3, 16, v12
	v_and_or_b32 v0, v3, s14, v0
	v_and_or_b32 v3, v14, s15, v13
	v_cmp_ne_u32_e64 s[0:1], 0, v3
	v_cndmask_b32_e64 v3, 0, 1, s[0:1]
	v_lshrrev_b32_e32 v6, 8, v14
	v_bfe_u32 v11, v14, 20, 11
	v_and_or_b32 v3, v6, s10, v3
	v_sub_u32_e32 v12, 0x3f1, v11
	v_or_b32_e32 v6, 0x1000, v3
	v_med3_i32 v12, v12, 0, 13
	v_lshrrev_b32_e32 v13, v12, v6
	v_lshlrev_b32_e32 v12, v12, v13
	v_cmp_ne_u32_e64 s[0:1], v12, v6
	v_cndmask_b32_e64 v6, 0, 1, s[0:1]
	v_or_b32_e32 v6, v13, v6
	v_add_u32_e32 v13, 0xfffffc10, v11
	v_lshl_or_b32 v11, v13, 12, v3
	v_cmp_gt_i32_e64 s[0:1], 1, v13
	v_cndmask_b32_e64 v6, v11, v6, s[0:1]
	v_and_b32_e32 v11, 7, v6
	v_cmp_lt_i32_e64 s[0:1], 5, v11
	v_cmp_eq_u32_e64 s[2:3], 3, v11
	ds_read2_b32 v[11:12], v8 offset0:124 offset1:166
	v_lshrrev_b32_e32 v6, 2, v6
	s_or_b64 s[0:1], s[2:3], s[0:1]
	v_addc_co_u32_e64 v6, s[0:1], 0, v6, s[0:1]
	s_waitcnt lgkmcnt(0)
	v_lshrrev_b32_e32 v17, 16, v11
	v_mul_f16_sdwa v15, v51, v17 dst_sel:DWORD dst_unused:UNUSED_PAD src0_sel:WORD_1 src1_sel:DWORD
	v_fma_f16 v15, v51, v11, v15
	v_cvt_f32_f16_e32 v15, v15
	v_cmp_gt_i32_e64 s[0:1], 31, v13
	v_cndmask_b32_e64 v6, v2, v6, s[0:1]
	v_cmp_ne_u32_e64 s[0:1], 0, v3
	v_cvt_f64_f32_e32 v[15:16], v15
	v_cndmask_b32_e64 v3, 0, 1, s[0:1]
	v_lshl_or_b32 v3, v3, 9, v2
	v_cmp_eq_u32_e64 s[0:1], s11, v13
	v_cndmask_b32_e64 v3, v6, v3, s[0:1]
	v_lshrrev_b32_e32 v6, 16, v14
	v_mul_f64 v[13:14], v[15:16], s[12:13]
	v_and_or_b32 v3, v6, s14, v3
	v_and_b32_e32 v0, 0xffff, v0
	v_add_co_u32_e64 v9, s[0:1], s6, v9
	v_lshl_or_b32 v0, v3, 16, v0
	v_addc_co_u32_e64 v10, s[0:1], v10, v1, s[0:1]
	global_store_dword v[9:10], v0, off
	v_and_or_b32 v0, v14, s15, v13
	v_cmp_ne_u32_e64 s[0:1], 0, v0
	v_cndmask_b32_e64 v0, 0, 1, s[0:1]
	v_lshrrev_b32_e32 v3, 8, v14
	v_bfe_u32 v6, v14, 20, 11
	v_and_or_b32 v0, v3, s10, v0
	v_sub_u32_e32 v13, 0x3f1, v6
	v_mul_f16_sdwa v11, v51, v11 dst_sel:DWORD dst_unused:UNUSED_PAD src0_sel:WORD_1 src1_sel:DWORD
	v_or_b32_e32 v3, 0x1000, v0
	v_med3_i32 v13, v13, 0, 13
	v_fma_f16 v11, v51, v17, -v11
	v_lshrrev_b32_e32 v15, v13, v3
	v_cvt_f32_f16_e32 v11, v11
	v_lshlrev_b32_e32 v13, v13, v15
	v_cmp_ne_u32_e64 s[0:1], v13, v3
	v_cndmask_b32_e64 v3, 0, 1, s[0:1]
	v_or_b32_e32 v3, v15, v3
	v_add_u32_e32 v6, 0xfffffc10, v6
	v_cvt_f64_f32_e32 v[15:16], v11
	v_lshl_or_b32 v13, v6, 12, v0
	v_cmp_gt_i32_e64 s[0:1], 1, v6
	v_cndmask_b32_e64 v3, v13, v3, s[0:1]
	v_and_b32_e32 v13, 7, v3
	v_cmp_lt_i32_e64 s[0:1], 5, v13
	v_cmp_eq_u32_e64 s[2:3], 3, v13
	v_mul_f64 v[15:16], v[15:16], s[12:13]
	v_lshrrev_b32_e32 v3, 2, v3
	s_or_b64 s[0:1], s[2:3], s[0:1]
	v_addc_co_u32_e64 v3, s[0:1], 0, v3, s[0:1]
	v_cmp_gt_i32_e64 s[0:1], 31, v6
	v_cndmask_b32_e64 v3, v2, v3, s[0:1]
	v_cmp_ne_u32_e64 s[0:1], 0, v0
	v_cndmask_b32_e64 v0, 0, 1, s[0:1]
	v_lshl_or_b32 v0, v0, 9, v2
	v_cmp_eq_u32_e64 s[0:1], s11, v6
	v_cndmask_b32_e64 v0, v3, v0, s[0:1]
	v_lshrrev_b32_e32 v3, 16, v14
	v_and_or_b32 v0, v3, s14, v0
	v_and_or_b32 v3, v16, s15, v15
	v_cmp_ne_u32_e64 s[0:1], 0, v3
	v_cndmask_b32_e64 v3, 0, 1, s[0:1]
	v_lshrrev_b32_e32 v6, 8, v16
	v_bfe_u32 v11, v16, 20, 11
	v_and_or_b32 v3, v6, s10, v3
	v_sub_u32_e32 v13, 0x3f1, v11
	v_or_b32_e32 v6, 0x1000, v3
	v_med3_i32 v13, v13, 0, 13
	v_lshrrev_b32_e32 v14, v13, v6
	v_lshlrev_b32_e32 v13, v13, v14
	v_cmp_ne_u32_e64 s[0:1], v13, v6
	v_cndmask_b32_e64 v6, 0, 1, s[0:1]
	v_add_u32_e32 v11, 0xfffffc10, v11
	v_or_b32_e32 v6, v14, v6
	v_lshl_or_b32 v13, v11, 12, v3
	v_cmp_gt_i32_e64 s[0:1], 1, v11
	v_cndmask_b32_e64 v6, v13, v6, s[0:1]
	v_and_b32_e32 v13, 7, v6
	v_lshrrev_b32_e32 v15, 16, v12
	v_cmp_lt_i32_e64 s[0:1], 5, v13
	v_cmp_eq_u32_e64 s[2:3], 3, v13
	v_mul_f16_sdwa v13, v50, v15 dst_sel:DWORD dst_unused:UNUSED_PAD src0_sel:WORD_1 src1_sel:DWORD
	v_fma_f16 v13, v50, v12, v13
	v_cvt_f32_f16_e32 v13, v13
	v_lshrrev_b32_e32 v6, 2, v6
	s_or_b64 s[0:1], s[2:3], s[0:1]
	v_addc_co_u32_e64 v6, s[0:1], 0, v6, s[0:1]
	v_cvt_f64_f32_e32 v[13:14], v13
	v_cmp_gt_i32_e64 s[0:1], 31, v11
	v_cndmask_b32_e64 v6, v2, v6, s[0:1]
	v_cmp_ne_u32_e64 s[0:1], 0, v3
	v_mul_f64 v[13:14], v[13:14], s[12:13]
	v_cndmask_b32_e64 v3, 0, 1, s[0:1]
	v_lshl_or_b32 v3, v3, 9, v2
	v_cmp_eq_u32_e64 s[0:1], s11, v11
	v_cndmask_b32_e64 v3, v6, v3, s[0:1]
	v_lshrrev_b32_e32 v6, 16, v16
	v_and_or_b32 v3, v6, s14, v3
	v_and_b32_e32 v0, 0xffff, v0
	v_add_co_u32_e64 v9, s[0:1], s6, v9
	v_lshl_or_b32 v0, v3, 16, v0
	v_addc_co_u32_e64 v10, s[0:1], v10, v1, s[0:1]
	global_store_dword v[9:10], v0, off
	v_and_or_b32 v0, v14, s15, v13
	v_cmp_ne_u32_e64 s[0:1], 0, v0
	v_cndmask_b32_e64 v0, 0, 1, s[0:1]
	v_lshrrev_b32_e32 v3, 8, v14
	v_bfe_u32 v6, v14, 20, 11
	v_and_or_b32 v0, v3, s10, v0
	v_sub_u32_e32 v11, 0x3f1, v6
	v_or_b32_e32 v3, 0x1000, v0
	v_med3_i32 v11, v11, 0, 13
	v_lshrrev_b32_e32 v13, v11, v3
	v_lshlrev_b32_e32 v11, v11, v13
	v_mul_f16_sdwa v12, v50, v12 dst_sel:DWORD dst_unused:UNUSED_PAD src0_sel:WORD_1 src1_sel:DWORD
	v_cmp_ne_u32_e64 s[0:1], v11, v3
	v_fma_f16 v12, v50, v15, -v12
	v_cndmask_b32_e64 v3, 0, 1, s[0:1]
	v_add_u32_e32 v6, 0xfffffc10, v6
	v_cvt_f32_f16_e32 v12, v12
	v_or_b32_e32 v3, v13, v3
	v_lshl_or_b32 v11, v6, 12, v0
	v_cmp_gt_i32_e64 s[0:1], 1, v6
	v_cndmask_b32_e64 v3, v11, v3, s[0:1]
	v_and_b32_e32 v11, 7, v3
	v_cmp_lt_i32_e64 s[0:1], 5, v11
	v_cmp_eq_u32_e64 s[2:3], 3, v11
	v_cvt_f64_f32_e32 v[11:12], v12
	v_lshrrev_b32_e32 v3, 2, v3
	s_or_b64 s[0:1], s[2:3], s[0:1]
	v_addc_co_u32_e64 v3, s[0:1], 0, v3, s[0:1]
	v_mul_f64 v[11:12], v[11:12], s[12:13]
	v_cmp_gt_i32_e64 s[0:1], 31, v6
	v_cndmask_b32_e64 v3, v2, v3, s[0:1]
	v_cmp_ne_u32_e64 s[0:1], 0, v0
	v_cndmask_b32_e64 v0, 0, 1, s[0:1]
	v_lshl_or_b32 v0, v0, 9, v2
	v_cmp_eq_u32_e64 s[0:1], s11, v6
	v_cndmask_b32_e64 v0, v3, v0, s[0:1]
	v_lshrrev_b32_e32 v3, 16, v14
	v_and_or_b32 v0, v3, s14, v0
	v_and_or_b32 v3, v12, s15, v11
	v_cmp_ne_u32_e64 s[0:1], 0, v3
	v_cndmask_b32_e64 v3, 0, 1, s[0:1]
	v_lshrrev_b32_e32 v6, 8, v12
	v_bfe_u32 v11, v12, 20, 11
	v_and_or_b32 v3, v6, s10, v3
	v_sub_u32_e32 v13, 0x3f1, v11
	v_or_b32_e32 v6, 0x1000, v3
	v_med3_i32 v13, v13, 0, 13
	v_lshrrev_b32_e32 v14, v13, v6
	v_lshlrev_b32_e32 v13, v13, v14
	v_cmp_ne_u32_e64 s[0:1], v13, v6
	v_cndmask_b32_e64 v6, 0, 1, s[0:1]
	v_add_u32_e32 v11, 0xfffffc10, v11
	v_or_b32_e32 v6, v14, v6
	v_lshl_or_b32 v13, v11, 12, v3
	v_cmp_gt_i32_e64 s[0:1], 1, v11
	v_cndmask_b32_e64 v6, v13, v6, s[0:1]
	v_and_b32_e32 v13, 7, v6
	v_cmp_lt_i32_e64 s[0:1], 5, v13
	v_cmp_eq_u32_e64 s[2:3], 3, v13
	ds_read2_b32 v[13:14], v7 offset0:80 offset1:122
	v_lshrrev_b32_e32 v6, 2, v6
	s_or_b64 s[0:1], s[2:3], s[0:1]
	v_addc_co_u32_e64 v6, s[0:1], 0, v6, s[0:1]
	s_waitcnt lgkmcnt(0)
	v_lshrrev_b32_e32 v17, 16, v13
	v_mul_f16_sdwa v15, v49, v17 dst_sel:DWORD dst_unused:UNUSED_PAD src0_sel:WORD_1 src1_sel:DWORD
	v_fma_f16 v15, v49, v13, v15
	v_cvt_f32_f16_e32 v15, v15
	v_cmp_gt_i32_e64 s[0:1], 31, v11
	v_cndmask_b32_e64 v6, v2, v6, s[0:1]
	v_cmp_ne_u32_e64 s[0:1], 0, v3
	v_cvt_f64_f32_e32 v[15:16], v15
	v_cndmask_b32_e64 v3, 0, 1, s[0:1]
	v_lshl_or_b32 v3, v3, 9, v2
	v_cmp_eq_u32_e64 s[0:1], s11, v11
	v_cndmask_b32_e64 v3, v6, v3, s[0:1]
	v_lshrrev_b32_e32 v6, 16, v12
	v_mul_f64 v[11:12], v[15:16], s[12:13]
	v_and_or_b32 v3, v6, s14, v3
	v_and_b32_e32 v0, 0xffff, v0
	v_add_co_u32_e64 v9, s[0:1], s6, v9
	v_lshl_or_b32 v0, v3, 16, v0
	v_addc_co_u32_e64 v10, s[0:1], v10, v1, s[0:1]
	global_store_dword v[9:10], v0, off
	v_and_or_b32 v0, v12, s15, v11
	v_cmp_ne_u32_e64 s[0:1], 0, v0
	v_cndmask_b32_e64 v0, 0, 1, s[0:1]
	v_lshrrev_b32_e32 v3, 8, v12
	v_bfe_u32 v6, v12, 20, 11
	v_and_or_b32 v0, v3, s10, v0
	v_sub_u32_e32 v11, 0x3f1, v6
	v_mul_f16_sdwa v13, v49, v13 dst_sel:DWORD dst_unused:UNUSED_PAD src0_sel:WORD_1 src1_sel:DWORD
	v_or_b32_e32 v3, 0x1000, v0
	v_med3_i32 v11, v11, 0, 13
	v_fma_f16 v13, v49, v17, -v13
	v_lshrrev_b32_e32 v15, v11, v3
	v_cvt_f32_f16_e32 v13, v13
	v_lshlrev_b32_e32 v11, v11, v15
	v_cmp_ne_u32_e64 s[0:1], v11, v3
	v_cndmask_b32_e64 v3, 0, 1, s[0:1]
	v_or_b32_e32 v3, v15, v3
	v_add_u32_e32 v6, 0xfffffc10, v6
	v_cvt_f64_f32_e32 v[15:16], v13
	v_lshl_or_b32 v11, v6, 12, v0
	v_cmp_gt_i32_e64 s[0:1], 1, v6
	v_cndmask_b32_e64 v3, v11, v3, s[0:1]
	v_and_b32_e32 v11, 7, v3
	v_cmp_lt_i32_e64 s[0:1], 5, v11
	v_cmp_eq_u32_e64 s[2:3], 3, v11
	v_mul_f64 v[15:16], v[15:16], s[12:13]
	v_lshrrev_b32_e32 v3, 2, v3
	s_or_b64 s[0:1], s[2:3], s[0:1]
	v_addc_co_u32_e64 v3, s[0:1], 0, v3, s[0:1]
	v_cmp_gt_i32_e64 s[0:1], 31, v6
	v_cndmask_b32_e64 v3, v2, v3, s[0:1]
	v_cmp_ne_u32_e64 s[0:1], 0, v0
	v_cndmask_b32_e64 v0, 0, 1, s[0:1]
	v_lshl_or_b32 v0, v0, 9, v2
	v_cmp_eq_u32_e64 s[0:1], s11, v6
	v_cndmask_b32_e64 v0, v3, v0, s[0:1]
	v_lshrrev_b32_e32 v3, 16, v12
	v_and_or_b32 v0, v3, s14, v0
	v_and_or_b32 v3, v16, s15, v15
	v_cmp_ne_u32_e64 s[0:1], 0, v3
	v_cndmask_b32_e64 v3, 0, 1, s[0:1]
	v_lshrrev_b32_e32 v6, 8, v16
	v_bfe_u32 v11, v16, 20, 11
	v_and_or_b32 v3, v6, s10, v3
	v_sub_u32_e32 v12, 0x3f1, v11
	v_or_b32_e32 v6, 0x1000, v3
	v_med3_i32 v12, v12, 0, 13
	v_lshrrev_b32_e32 v13, v12, v6
	v_lshlrev_b32_e32 v12, v12, v13
	v_cmp_ne_u32_e64 s[0:1], v12, v6
	v_cndmask_b32_e64 v6, 0, 1, s[0:1]
	v_or_b32_e32 v6, v13, v6
	v_add_u32_e32 v13, 0xfffffc10, v11
	v_lshl_or_b32 v11, v13, 12, v3
	v_cmp_gt_i32_e64 s[0:1], 1, v13
	v_cndmask_b32_e64 v6, v11, v6, s[0:1]
	v_and_b32_e32 v11, 7, v6
	v_lshrrev_b32_e32 v15, 16, v14
	v_cmp_lt_i32_e64 s[0:1], 5, v11
	v_cmp_eq_u32_e64 s[2:3], 3, v11
	v_mul_f16_sdwa v11, v48, v15 dst_sel:DWORD dst_unused:UNUSED_PAD src0_sel:WORD_1 src1_sel:DWORD
	v_fma_f16 v11, v48, v14, v11
	v_cvt_f32_f16_e32 v11, v11
	v_lshrrev_b32_e32 v6, 2, v6
	s_or_b64 s[0:1], s[2:3], s[0:1]
	v_addc_co_u32_e64 v6, s[0:1], 0, v6, s[0:1]
	v_cvt_f64_f32_e32 v[11:12], v11
	v_cmp_gt_i32_e64 s[0:1], 31, v13
	v_cndmask_b32_e64 v6, v2, v6, s[0:1]
	v_cmp_ne_u32_e64 s[0:1], 0, v3
	v_mul_f64 v[11:12], v[11:12], s[12:13]
	v_cndmask_b32_e64 v3, 0, 1, s[0:1]
	v_lshl_or_b32 v3, v3, 9, v2
	v_cmp_eq_u32_e64 s[0:1], s11, v13
	v_cndmask_b32_e64 v3, v6, v3, s[0:1]
	v_lshrrev_b32_e32 v6, 16, v16
	v_and_or_b32 v3, v6, s14, v3
	v_and_b32_e32 v0, 0xffff, v0
	v_add_co_u32_e64 v9, s[0:1], s6, v9
	v_lshl_or_b32 v0, v3, 16, v0
	v_addc_co_u32_e64 v10, s[0:1], v10, v1, s[0:1]
	global_store_dword v[9:10], v0, off
	v_and_or_b32 v0, v12, s15, v11
	v_cmp_ne_u32_e64 s[0:1], 0, v0
	v_cndmask_b32_e64 v0, 0, 1, s[0:1]
	v_lshrrev_b32_e32 v3, 8, v12
	v_bfe_u32 v6, v12, 20, 11
	v_and_or_b32 v0, v3, s10, v0
	v_sub_u32_e32 v11, 0x3f1, v6
	v_or_b32_e32 v3, 0x1000, v0
	v_med3_i32 v11, v11, 0, 13
	v_lshrrev_b32_e32 v13, v11, v3
	v_lshlrev_b32_e32 v11, v11, v13
	v_cmp_ne_u32_e64 s[0:1], v11, v3
	v_cndmask_b32_e64 v3, 0, 1, s[0:1]
	v_or_b32_e32 v3, v13, v3
	v_mul_f16_sdwa v13, v48, v14 dst_sel:DWORD dst_unused:UNUSED_PAD src0_sel:WORD_1 src1_sel:DWORD
	v_fma_f16 v13, v48, v15, -v13
	v_cvt_f32_f16_e32 v13, v13
	v_add_u32_e32 v6, 0xfffffc10, v6
	v_lshl_or_b32 v11, v6, 12, v0
	v_cmp_gt_i32_e64 s[0:1], 1, v6
	v_cvt_f64_f32_e32 v[13:14], v13
	v_cndmask_b32_e64 v3, v11, v3, s[0:1]
	v_and_b32_e32 v11, 7, v3
	v_cmp_lt_i32_e64 s[0:1], 5, v11
	v_cmp_eq_u32_e64 s[2:3], 3, v11
	v_mul_f64 v[13:14], v[13:14], s[12:13]
	v_lshrrev_b32_e32 v3, 2, v3
	s_or_b64 s[0:1], s[2:3], s[0:1]
	v_addc_co_u32_e64 v3, s[0:1], 0, v3, s[0:1]
	v_cmp_gt_i32_e64 s[0:1], 31, v6
	v_cndmask_b32_e64 v3, v2, v3, s[0:1]
	v_cmp_ne_u32_e64 s[0:1], 0, v0
	v_cndmask_b32_e64 v0, 0, 1, s[0:1]
	v_lshl_or_b32 v0, v0, 9, v2
	v_cmp_eq_u32_e64 s[0:1], s11, v6
	v_cndmask_b32_e64 v0, v3, v0, s[0:1]
	v_lshrrev_b32_e32 v3, 16, v12
	v_and_or_b32 v0, v3, s14, v0
	v_and_or_b32 v3, v14, s15, v13
	v_cmp_ne_u32_e64 s[0:1], 0, v3
	v_cndmask_b32_e64 v3, 0, 1, s[0:1]
	v_lshrrev_b32_e32 v6, 8, v14
	v_bfe_u32 v11, v14, 20, 11
	v_and_or_b32 v3, v6, s10, v3
	v_sub_u32_e32 v12, 0x3f1, v11
	v_or_b32_e32 v6, 0x1000, v3
	v_med3_i32 v12, v12, 0, 13
	v_lshrrev_b32_e32 v13, v12, v6
	v_lshlrev_b32_e32 v12, v12, v13
	v_cmp_ne_u32_e64 s[0:1], v12, v6
	v_cndmask_b32_e64 v6, 0, 1, s[0:1]
	v_or_b32_e32 v6, v13, v6
	v_add_u32_e32 v13, 0xfffffc10, v11
	v_lshl_or_b32 v11, v13, 12, v3
	v_cmp_gt_i32_e64 s[0:1], 1, v13
	v_cndmask_b32_e64 v6, v11, v6, s[0:1]
	v_and_b32_e32 v11, 7, v6
	v_cmp_lt_i32_e64 s[0:1], 5, v11
	v_cmp_eq_u32_e64 s[2:3], 3, v11
	ds_read2_b32 v[11:12], v7 offset0:164 offset1:206
	v_lshrrev_b32_e32 v6, 2, v6
	s_or_b64 s[0:1], s[2:3], s[0:1]
	v_addc_co_u32_e64 v6, s[0:1], 0, v6, s[0:1]
	s_waitcnt lgkmcnt(0)
	v_lshrrev_b32_e32 v17, 16, v11
	v_mul_f16_sdwa v15, v47, v17 dst_sel:DWORD dst_unused:UNUSED_PAD src0_sel:WORD_1 src1_sel:DWORD
	v_fma_f16 v15, v47, v11, v15
	v_cvt_f32_f16_e32 v15, v15
	v_cmp_gt_i32_e64 s[0:1], 31, v13
	v_cndmask_b32_e64 v6, v2, v6, s[0:1]
	v_cmp_ne_u32_e64 s[0:1], 0, v3
	v_cvt_f64_f32_e32 v[15:16], v15
	v_cndmask_b32_e64 v3, 0, 1, s[0:1]
	v_lshl_or_b32 v3, v3, 9, v2
	v_cmp_eq_u32_e64 s[0:1], s11, v13
	v_cndmask_b32_e64 v3, v6, v3, s[0:1]
	v_lshrrev_b32_e32 v6, 16, v14
	v_mul_f64 v[13:14], v[15:16], s[12:13]
	v_and_or_b32 v3, v6, s14, v3
	v_and_b32_e32 v0, 0xffff, v0
	v_add_co_u32_e64 v9, s[0:1], s6, v9
	v_lshl_or_b32 v0, v3, 16, v0
	v_addc_co_u32_e64 v10, s[0:1], v10, v1, s[0:1]
	global_store_dword v[9:10], v0, off
	v_and_or_b32 v0, v14, s15, v13
	v_cmp_ne_u32_e64 s[0:1], 0, v0
	v_cndmask_b32_e64 v0, 0, 1, s[0:1]
	v_lshrrev_b32_e32 v3, 8, v14
	v_bfe_u32 v6, v14, 20, 11
	v_and_or_b32 v0, v3, s10, v0
	v_sub_u32_e32 v13, 0x3f1, v6
	v_mul_f16_sdwa v11, v47, v11 dst_sel:DWORD dst_unused:UNUSED_PAD src0_sel:WORD_1 src1_sel:DWORD
	v_or_b32_e32 v3, 0x1000, v0
	v_med3_i32 v13, v13, 0, 13
	v_fma_f16 v11, v47, v17, -v11
	v_lshrrev_b32_e32 v15, v13, v3
	v_cvt_f32_f16_e32 v11, v11
	v_lshlrev_b32_e32 v13, v13, v15
	v_cmp_ne_u32_e64 s[0:1], v13, v3
	v_cndmask_b32_e64 v3, 0, 1, s[0:1]
	v_or_b32_e32 v3, v15, v3
	v_add_u32_e32 v6, 0xfffffc10, v6
	v_cvt_f64_f32_e32 v[15:16], v11
	v_lshl_or_b32 v13, v6, 12, v0
	v_cmp_gt_i32_e64 s[0:1], 1, v6
	v_cndmask_b32_e64 v3, v13, v3, s[0:1]
	v_and_b32_e32 v13, 7, v3
	v_cmp_lt_i32_e64 s[0:1], 5, v13
	v_cmp_eq_u32_e64 s[2:3], 3, v13
	v_mul_f64 v[15:16], v[15:16], s[12:13]
	v_lshrrev_b32_e32 v3, 2, v3
	s_or_b64 s[0:1], s[2:3], s[0:1]
	v_addc_co_u32_e64 v3, s[0:1], 0, v3, s[0:1]
	v_cmp_gt_i32_e64 s[0:1], 31, v6
	v_cndmask_b32_e64 v3, v2, v3, s[0:1]
	v_cmp_ne_u32_e64 s[0:1], 0, v0
	v_cndmask_b32_e64 v0, 0, 1, s[0:1]
	v_lshl_or_b32 v0, v0, 9, v2
	v_cmp_eq_u32_e64 s[0:1], s11, v6
	v_cndmask_b32_e64 v0, v3, v0, s[0:1]
	v_lshrrev_b32_e32 v3, 16, v14
	v_and_or_b32 v0, v3, s14, v0
	v_and_or_b32 v3, v16, s15, v15
	v_cmp_ne_u32_e64 s[0:1], 0, v3
	v_cndmask_b32_e64 v3, 0, 1, s[0:1]
	v_lshrrev_b32_e32 v6, 8, v16
	v_bfe_u32 v11, v16, 20, 11
	v_and_or_b32 v3, v6, s10, v3
	v_sub_u32_e32 v13, 0x3f1, v11
	v_or_b32_e32 v6, 0x1000, v3
	v_med3_i32 v13, v13, 0, 13
	v_lshrrev_b32_e32 v14, v13, v6
	v_lshlrev_b32_e32 v13, v13, v14
	v_cmp_ne_u32_e64 s[0:1], v13, v6
	v_cndmask_b32_e64 v6, 0, 1, s[0:1]
	v_add_u32_e32 v11, 0xfffffc10, v11
	v_or_b32_e32 v6, v14, v6
	v_lshl_or_b32 v13, v11, 12, v3
	v_cmp_gt_i32_e64 s[0:1], 1, v11
	v_cndmask_b32_e64 v6, v13, v6, s[0:1]
	v_and_b32_e32 v13, 7, v6
	v_lshrrev_b32_e32 v15, 16, v12
	v_cmp_lt_i32_e64 s[0:1], 5, v13
	v_cmp_eq_u32_e64 s[2:3], 3, v13
	v_mul_f16_sdwa v13, v46, v15 dst_sel:DWORD dst_unused:UNUSED_PAD src0_sel:WORD_1 src1_sel:DWORD
	v_fma_f16 v13, v46, v12, v13
	v_cvt_f32_f16_e32 v13, v13
	v_lshrrev_b32_e32 v6, 2, v6
	s_or_b64 s[0:1], s[2:3], s[0:1]
	v_addc_co_u32_e64 v6, s[0:1], 0, v6, s[0:1]
	v_cvt_f64_f32_e32 v[13:14], v13
	v_cmp_gt_i32_e64 s[0:1], 31, v11
	v_cndmask_b32_e64 v6, v2, v6, s[0:1]
	v_cmp_ne_u32_e64 s[0:1], 0, v3
	v_mul_f64 v[13:14], v[13:14], s[12:13]
	v_cndmask_b32_e64 v3, 0, 1, s[0:1]
	v_lshl_or_b32 v3, v3, 9, v2
	v_cmp_eq_u32_e64 s[0:1], s11, v11
	v_cndmask_b32_e64 v3, v6, v3, s[0:1]
	v_lshrrev_b32_e32 v6, 16, v16
	v_and_or_b32 v3, v6, s14, v3
	v_and_b32_e32 v0, 0xffff, v0
	v_add_co_u32_e64 v9, s[0:1], s6, v9
	v_lshl_or_b32 v0, v3, 16, v0
	v_addc_co_u32_e64 v10, s[0:1], v10, v1, s[0:1]
	global_store_dword v[9:10], v0, off
	v_and_or_b32 v0, v14, s15, v13
	v_cmp_ne_u32_e64 s[0:1], 0, v0
	v_cndmask_b32_e64 v0, 0, 1, s[0:1]
	v_lshrrev_b32_e32 v3, 8, v14
	v_bfe_u32 v6, v14, 20, 11
	v_and_or_b32 v0, v3, s10, v0
	v_sub_u32_e32 v11, 0x3f1, v6
	v_or_b32_e32 v3, 0x1000, v0
	v_med3_i32 v11, v11, 0, 13
	v_lshrrev_b32_e32 v13, v11, v3
	v_lshlrev_b32_e32 v11, v11, v13
	v_mul_f16_sdwa v12, v46, v12 dst_sel:DWORD dst_unused:UNUSED_PAD src0_sel:WORD_1 src1_sel:DWORD
	v_cmp_ne_u32_e64 s[0:1], v11, v3
	v_fma_f16 v12, v46, v15, -v12
	v_cndmask_b32_e64 v3, 0, 1, s[0:1]
	v_add_u32_e32 v6, 0xfffffc10, v6
	v_cvt_f32_f16_e32 v12, v12
	v_or_b32_e32 v3, v13, v3
	v_lshl_or_b32 v11, v6, 12, v0
	v_cmp_gt_i32_e64 s[0:1], 1, v6
	v_cndmask_b32_e64 v3, v11, v3, s[0:1]
	v_and_b32_e32 v11, 7, v3
	v_cmp_lt_i32_e64 s[0:1], 5, v11
	v_cmp_eq_u32_e64 s[2:3], 3, v11
	v_cvt_f64_f32_e32 v[11:12], v12
	v_lshrrev_b32_e32 v3, 2, v3
	s_or_b64 s[0:1], s[2:3], s[0:1]
	v_addc_co_u32_e64 v3, s[0:1], 0, v3, s[0:1]
	v_mul_f64 v[11:12], v[11:12], s[12:13]
	v_cmp_gt_i32_e64 s[0:1], 31, v6
	v_cndmask_b32_e64 v3, v2, v3, s[0:1]
	v_cmp_ne_u32_e64 s[0:1], 0, v0
	v_cndmask_b32_e64 v0, 0, 1, s[0:1]
	v_lshl_or_b32 v0, v0, 9, v2
	v_cmp_eq_u32_e64 s[0:1], s11, v6
	v_cndmask_b32_e64 v0, v3, v0, s[0:1]
	v_lshrrev_b32_e32 v3, 16, v14
	v_and_or_b32 v0, v3, s14, v0
	v_and_or_b32 v3, v12, s15, v11
	v_cmp_ne_u32_e64 s[0:1], 0, v3
	v_cndmask_b32_e64 v3, 0, 1, s[0:1]
	v_lshrrev_b32_e32 v6, 8, v12
	v_bfe_u32 v11, v12, 20, 11
	v_and_or_b32 v3, v6, s10, v3
	v_sub_u32_e32 v13, 0x3f1, v11
	v_or_b32_e32 v6, 0x1000, v3
	v_med3_i32 v13, v13, 0, 13
	v_lshrrev_b32_e32 v14, v13, v6
	v_lshlrev_b32_e32 v13, v13, v14
	ds_read_b32 v15, v44 offset:2016
	v_cmp_ne_u32_e64 s[0:1], v13, v6
	v_cndmask_b32_e64 v6, 0, 1, s[0:1]
	v_add_u32_e32 v11, 0xfffffc10, v11
	v_or_b32_e32 v6, v14, v6
	v_lshl_or_b32 v13, v11, 12, v3
	v_cmp_gt_i32_e64 s[0:1], 1, v11
	v_cndmask_b32_e64 v6, v13, v6, s[0:1]
	v_and_b32_e32 v13, 7, v6
	s_waitcnt lgkmcnt(0)
	v_lshrrev_b32_e32 v16, 16, v15
	v_cmp_lt_i32_e64 s[0:1], 5, v13
	v_cmp_eq_u32_e64 s[2:3], 3, v13
	v_mul_f16_sdwa v13, v45, v16 dst_sel:DWORD dst_unused:UNUSED_PAD src0_sel:WORD_1 src1_sel:DWORD
	v_fma_f16 v13, v45, v15, v13
	v_cvt_f32_f16_e32 v13, v13
	v_lshrrev_b32_e32 v6, 2, v6
	s_or_b64 s[0:1], s[2:3], s[0:1]
	v_addc_co_u32_e64 v6, s[0:1], 0, v6, s[0:1]
	v_cmp_gt_i32_e64 s[0:1], 31, v11
	v_cvt_f64_f32_e32 v[13:14], v13
	v_cndmask_b32_e64 v6, v2, v6, s[0:1]
	v_cmp_ne_u32_e64 s[0:1], 0, v3
	v_cndmask_b32_e64 v3, 0, 1, s[0:1]
	v_lshl_or_b32 v3, v3, 9, v2
	v_cmp_eq_u32_e64 s[0:1], s11, v11
	v_cndmask_b32_e64 v3, v6, v3, s[0:1]
	v_lshrrev_b32_e32 v6, 16, v12
	v_mul_f64 v[11:12], v[13:14], s[12:13]
	v_and_or_b32 v3, v6, s14, v3
	v_and_b32_e32 v0, 0xffff, v0
	v_add_co_u32_e64 v9, s[0:1], s6, v9
	v_lshl_or_b32 v0, v3, 16, v0
	v_addc_co_u32_e64 v10, s[0:1], v10, v1, s[0:1]
	global_store_dword v[9:10], v0, off
	v_and_or_b32 v0, v12, s15, v11
	v_cmp_ne_u32_e64 s[0:1], 0, v0
	v_cndmask_b32_e64 v0, 0, 1, s[0:1]
	v_lshrrev_b32_e32 v3, 8, v12
	v_bfe_u32 v6, v12, 20, 11
	v_and_or_b32 v0, v3, s10, v0
	v_sub_u32_e32 v11, 0x3f1, v6
	v_or_b32_e32 v3, 0x1000, v0
	v_med3_i32 v11, v11, 0, 13
	v_lshrrev_b32_e32 v13, v11, v3
	v_lshlrev_b32_e32 v11, v11, v13
	v_cmp_ne_u32_e64 s[0:1], v11, v3
	v_cndmask_b32_e64 v3, 0, 1, s[0:1]
	v_or_b32_e32 v3, v13, v3
	v_mul_f16_sdwa v13, v45, v15 dst_sel:DWORD dst_unused:UNUSED_PAD src0_sel:WORD_1 src1_sel:DWORD
	v_fma_f16 v13, v45, v16, -v13
	v_cvt_f32_f16_e32 v13, v13
	v_add_u32_e32 v6, 0xfffffc10, v6
	v_lshl_or_b32 v11, v6, 12, v0
	v_cmp_gt_i32_e64 s[0:1], 1, v6
	v_cvt_f64_f32_e32 v[13:14], v13
	v_cndmask_b32_e64 v3, v11, v3, s[0:1]
	v_and_b32_e32 v11, 7, v3
	v_cmp_lt_i32_e64 s[0:1], 5, v11
	v_cmp_eq_u32_e64 s[2:3], 3, v11
	v_mul_f64 v[13:14], v[13:14], s[12:13]
	v_lshrrev_b32_e32 v3, 2, v3
	s_or_b64 s[0:1], s[2:3], s[0:1]
	v_addc_co_u32_e64 v3, s[0:1], 0, v3, s[0:1]
	v_cmp_gt_i32_e64 s[0:1], 31, v6
	v_cndmask_b32_e64 v3, v2, v3, s[0:1]
	v_cmp_ne_u32_e64 s[0:1], 0, v0
	v_cndmask_b32_e64 v0, 0, 1, s[0:1]
	v_lshl_or_b32 v0, v0, 9, v2
	v_cmp_eq_u32_e64 s[0:1], s11, v6
	v_cndmask_b32_e64 v0, v3, v0, s[0:1]
	v_lshrrev_b32_e32 v3, 16, v12
	v_and_or_b32 v0, v3, s14, v0
	v_and_or_b32 v3, v14, s15, v13
	v_cmp_ne_u32_e64 s[0:1], 0, v3
	v_cndmask_b32_e64 v3, 0, 1, s[0:1]
	v_lshrrev_b32_e32 v6, 8, v14
	v_bfe_u32 v11, v14, 20, 11
	v_and_or_b32 v3, v6, s10, v3
	v_sub_u32_e32 v12, 0x3f1, v11
	v_or_b32_e32 v6, 0x1000, v3
	v_med3_i32 v12, v12, 0, 13
	v_lshrrev_b32_e32 v13, v12, v6
	v_lshlrev_b32_e32 v12, v12, v13
	v_cmp_ne_u32_e64 s[0:1], v12, v6
	v_cndmask_b32_e64 v6, 0, 1, s[0:1]
	v_add_u32_e32 v11, 0xfffffc10, v11
	v_or_b32_e32 v6, v13, v6
	v_lshl_or_b32 v12, v11, 12, v3
	v_cmp_gt_i32_e64 s[0:1], 1, v11
	v_cndmask_b32_e64 v6, v12, v6, s[0:1]
	v_and_b32_e32 v12, 7, v6
	v_cmp_lt_i32_e64 s[0:1], 5, v12
	v_cmp_eq_u32_e64 s[2:3], 3, v12
	v_lshrrev_b32_e32 v6, 2, v6
	s_or_b64 s[0:1], s[2:3], s[0:1]
	v_addc_co_u32_e64 v6, s[0:1], 0, v6, s[0:1]
	v_cmp_gt_i32_e64 s[0:1], 31, v11
	v_cndmask_b32_e64 v6, v2, v6, s[0:1]
	v_cmp_ne_u32_e64 s[0:1], 0, v3
	v_cndmask_b32_e64 v3, 0, 1, s[0:1]
	v_lshl_or_b32 v3, v3, 9, v2
	v_cmp_eq_u32_e64 s[0:1], s11, v11
	v_cndmask_b32_e64 v3, v6, v3, s[0:1]
	v_lshrrev_b32_e32 v6, 16, v14
	v_and_or_b32 v3, v6, s14, v3
	v_and_b32_e32 v0, 0xffff, v0
	v_lshl_or_b32 v3, v3, 16, v0
	v_add_co_u32_e64 v0, s[0:1], s6, v9
	v_addc_co_u32_e64 v1, s[0:1], v10, v1, s[0:1]
	global_store_dword v[0:1], v3, off
	s_and_b64 exec, exec, vcc
	s_cbranch_execz .LBB0_23
; %bb.22:
	global_load_dword v3, v[4:5], off offset:156
	ds_read_b32 v6, v60 offset:156
	s_waitcnt lgkmcnt(0)
	v_lshrrev_b32_e32 v9, 16, v6
	s_waitcnt vmcnt(0)
	v_mul_f16_sdwa v10, v9, v3 dst_sel:DWORD dst_unused:UNUSED_PAD src0_sel:DWORD src1_sel:WORD_1
	v_fma_f16 v10, v6, v3, v10
	v_mul_f16_sdwa v6, v6, v3 dst_sel:DWORD dst_unused:UNUSED_PAD src0_sel:DWORD src1_sel:WORD_1
	v_cvt_f32_f16_e32 v10, v10
	v_fma_f16 v3, v3, v9, -v6
	v_cvt_f32_f16_e32 v3, v3
	v_cvt_f64_f32_e32 v[9:10], v10
	v_cvt_f64_f32_e32 v[11:12], v3
	v_mov_b32_e32 v3, 0xfffff8bc
	v_mul_f64 v[9:10], v[9:10], s[12:13]
	v_mad_u64_u32 v[13:14], s[0:1], s8, v3, v[0:1]
	v_mul_f64 v[0:1], v[11:12], s[12:13]
	s_mul_i32 s0, s9, 0xfffff8bc
	s_sub_i32 s0, s0, s8
	v_add_u32_e32 v14, s0, v14
	v_and_or_b32 v3, v10, s15, v9
	v_cmp_ne_u32_e32 vcc, 0, v3
	v_lshrrev_b32_e32 v6, 8, v10
	v_and_or_b32 v0, v1, s15, v0
	v_bfe_u32 v9, v10, 20, 11
	v_cndmask_b32_e64 v3, 0, 1, vcc
	v_cmp_ne_u32_e32 vcc, 0, v0
	v_lshrrev_b32_e32 v11, 8, v1
	v_bfe_u32 v12, v1, 20, 11
	v_sub_u32_e32 v15, 0x3f1, v9
	v_cndmask_b32_e64 v0, 0, 1, vcc
	v_and_or_b32 v3, v6, s10, v3
	v_sub_u32_e32 v16, 0x3f1, v12
	v_med3_i32 v6, v15, 0, 13
	v_and_or_b32 v0, v11, s10, v0
	v_or_b32_e32 v15, 0x1000, v3
	v_add_u32_e32 v9, 0xfffffc10, v9
	v_med3_i32 v11, v16, 0, 13
	v_cmp_ne_u32_e32 vcc, 0, v3
	v_or_b32_e32 v17, 0x1000, v0
	v_lshrrev_b32_e32 v19, v6, v15
	v_add_u32_e32 v12, 0xfffffc10, v12
	v_lshl_or_b32 v16, v9, 12, v3
	v_cndmask_b32_e64 v3, 0, 1, vcc
	v_cmp_ne_u32_e32 vcc, 0, v0
	v_lshrrev_b32_e32 v20, v11, v17
	v_lshlrev_b32_e32 v6, v6, v19
	v_lshl_or_b32 v18, v12, 12, v0
	v_cndmask_b32_e64 v0, 0, 1, vcc
	v_lshlrev_b32_e32 v11, v11, v20
	v_cmp_ne_u32_e32 vcc, v6, v15
	v_cndmask_b32_e64 v6, 0, 1, vcc
	v_cmp_ne_u32_e32 vcc, v11, v17
	v_cndmask_b32_e64 v11, 0, 1, vcc
	v_or_b32_e32 v6, v19, v6
	v_cmp_gt_i32_e32 vcc, 1, v9
	v_cndmask_b32_e32 v6, v16, v6, vcc
	v_or_b32_e32 v11, v20, v11
	v_cmp_gt_i32_e32 vcc, 1, v12
	v_and_b32_e32 v15, 7, v6
	v_cndmask_b32_e32 v11, v18, v11, vcc
	v_cmp_lt_i32_e32 vcc, 5, v15
	v_cmp_eq_u32_e64 s[0:1], 3, v15
	v_lshrrev_b32_e32 v6, 2, v6
	v_and_b32_e32 v16, 7, v11
	s_or_b64 vcc, s[0:1], vcc
	v_cmp_lt_i32_e64 s[2:3], 5, v16
	v_cmp_eq_u32_e64 s[4:5], 3, v16
	v_addc_co_u32_e32 v6, vcc, 0, v6, vcc
	v_lshrrev_b32_e32 v11, 2, v11
	s_or_b64 vcc, s[4:5], s[2:3]
	v_addc_co_u32_e32 v11, vcc, 0, v11, vcc
	v_cmp_gt_i32_e32 vcc, 31, v9
	v_cndmask_b32_e32 v6, v2, v6, vcc
	v_cmp_gt_i32_e32 vcc, 31, v12
	v_lshl_or_b32 v3, v3, 9, v2
	v_cndmask_b32_e32 v11, v2, v11, vcc
	v_cmp_eq_u32_e32 vcc, s11, v9
	v_lshrrev_b32_e32 v10, 16, v10
	v_lshl_or_b32 v0, v0, 9, v2
	v_cndmask_b32_e32 v3, v6, v3, vcc
	v_cmp_eq_u32_e32 vcc, s11, v12
	v_lshrrev_b32_e32 v1, 16, v1
	v_cndmask_b32_e32 v0, v11, v0, vcc
	v_and_or_b32 v3, v10, s14, v3
	v_and_or_b32 v0, v1, s14, v0
	v_and_b32_e32 v1, 0xffff, v3
	v_lshl_or_b32 v0, v0, 16, v1
	global_store_dword v[13:14], v0, off
	global_load_dword v3, v[4:5], off offset:324
	ds_read2_b32 v[0:1], v44 offset0:81 offset1:123
	v_add_co_u32_e32 v13, vcc, s6, v13
	s_waitcnt lgkmcnt(0)
	v_lshrrev_b32_e32 v6, 16, v0
	s_waitcnt vmcnt(0)
	v_mul_f16_sdwa v9, v6, v3 dst_sel:DWORD dst_unused:UNUSED_PAD src0_sel:DWORD src1_sel:WORD_1
	v_fma_f16 v9, v0, v3, v9
	v_mul_f16_sdwa v0, v0, v3 dst_sel:DWORD dst_unused:UNUSED_PAD src0_sel:DWORD src1_sel:WORD_1
	v_cvt_f32_f16_e32 v9, v9
	v_fma_f16 v0, v3, v6, -v0
	v_cvt_f32_f16_e32 v0, v0
	v_cvt_f64_f32_e32 v[9:10], v9
	v_cvt_f64_f32_e32 v[11:12], v0
	v_mov_b32_e32 v0, s7
	v_mul_f64 v[9:10], v[9:10], s[12:13]
	v_addc_co_u32_e32 v14, vcc, v14, v0, vcc
	v_mul_f64 v[11:12], v[11:12], s[12:13]
	v_and_or_b32 v3, v10, s15, v9
	v_cmp_ne_u32_e32 vcc, 0, v3
	v_lshrrev_b32_e32 v6, 8, v10
	v_and_or_b32 v11, v12, s15, v11
	v_bfe_u32 v9, v10, 20, 11
	v_cndmask_b32_e64 v3, 0, 1, vcc
	v_cmp_ne_u32_e32 vcc, 0, v11
	v_lshrrev_b32_e32 v15, 8, v12
	v_bfe_u32 v16, v12, 20, 11
	v_sub_u32_e32 v17, 0x3f1, v9
	v_cndmask_b32_e64 v11, 0, 1, vcc
	v_and_or_b32 v3, v6, s10, v3
	v_sub_u32_e32 v18, 0x3f1, v16
	v_med3_i32 v6, v17, 0, 13
	v_and_or_b32 v11, v15, s10, v11
	v_or_b32_e32 v17, 0x1000, v3
	v_add_u32_e32 v9, 0xfffffc10, v9
	v_med3_i32 v15, v18, 0, 13
	v_cmp_ne_u32_e32 vcc, 0, v3
	v_or_b32_e32 v19, 0x1000, v11
	v_lshrrev_b32_e32 v21, v6, v17
	v_add_u32_e32 v16, 0xfffffc10, v16
	v_lshl_or_b32 v18, v9, 12, v3
	v_cndmask_b32_e64 v3, 0, 1, vcc
	v_cmp_ne_u32_e32 vcc, 0, v11
	v_lshrrev_b32_e32 v22, v15, v19
	v_lshlrev_b32_e32 v6, v6, v21
	v_lshl_or_b32 v20, v16, 12, v11
	v_cndmask_b32_e64 v11, 0, 1, vcc
	v_lshlrev_b32_e32 v15, v15, v22
	v_cmp_ne_u32_e32 vcc, v6, v17
	v_cndmask_b32_e64 v6, 0, 1, vcc
	v_cmp_ne_u32_e32 vcc, v15, v19
	v_cndmask_b32_e64 v15, 0, 1, vcc
	v_or_b32_e32 v6, v21, v6
	v_cmp_gt_i32_e32 vcc, 1, v9
	v_cndmask_b32_e32 v6, v18, v6, vcc
	v_or_b32_e32 v15, v22, v15
	v_cmp_gt_i32_e32 vcc, 1, v16
	v_and_b32_e32 v17, 7, v6
	v_cndmask_b32_e32 v15, v20, v15, vcc
	v_cmp_lt_i32_e32 vcc, 5, v17
	v_cmp_eq_u32_e64 s[0:1], 3, v17
	v_lshrrev_b32_e32 v6, 2, v6
	v_and_b32_e32 v18, 7, v15
	s_or_b64 vcc, s[0:1], vcc
	v_cmp_lt_i32_e64 s[2:3], 5, v18
	v_cmp_eq_u32_e64 s[4:5], 3, v18
	v_addc_co_u32_e32 v6, vcc, 0, v6, vcc
	v_lshrrev_b32_e32 v15, 2, v15
	s_or_b64 vcc, s[4:5], s[2:3]
	v_addc_co_u32_e32 v15, vcc, 0, v15, vcc
	v_cmp_gt_i32_e32 vcc, 31, v9
	v_cndmask_b32_e32 v6, v2, v6, vcc
	v_cmp_gt_i32_e32 vcc, 31, v16
	v_lshl_or_b32 v3, v3, 9, v2
	v_cndmask_b32_e32 v15, v2, v15, vcc
	v_cmp_eq_u32_e32 vcc, s11, v9
	v_lshrrev_b32_e32 v10, 16, v10
	v_lshl_or_b32 v11, v11, 9, v2
	v_cndmask_b32_e32 v3, v6, v3, vcc
	v_cmp_eq_u32_e32 vcc, s11, v16
	v_lshrrev_b32_e32 v12, 16, v12
	v_cndmask_b32_e32 v6, v15, v11, vcc
	v_and_or_b32 v3, v10, s14, v3
	v_and_or_b32 v6, v12, s14, v6
	v_and_b32_e32 v3, 0xffff, v3
	v_lshl_or_b32 v3, v6, 16, v3
	global_store_dword v[13:14], v3, off
	global_load_dword v3, v[4:5], off offset:492
	v_lshrrev_b32_e32 v6, 16, v1
	v_add_co_u32_e32 v13, vcc, s6, v13
	v_addc_co_u32_e32 v14, vcc, v14, v0, vcc
	s_waitcnt vmcnt(0)
	v_mul_f16_sdwa v9, v6, v3 dst_sel:DWORD dst_unused:UNUSED_PAD src0_sel:DWORD src1_sel:WORD_1
	v_fma_f16 v9, v1, v3, v9
	v_mul_f16_sdwa v1, v1, v3 dst_sel:DWORD dst_unused:UNUSED_PAD src0_sel:DWORD src1_sel:WORD_1
	v_cvt_f32_f16_e32 v9, v9
	v_fma_f16 v1, v3, v6, -v1
	v_cvt_f32_f16_e32 v1, v1
	v_cvt_f64_f32_e32 v[9:10], v9
	v_cvt_f64_f32_e32 v[11:12], v1
	v_mul_f64 v[9:10], v[9:10], s[12:13]
	v_mul_f64 v[11:12], v[11:12], s[12:13]
	v_and_or_b32 v1, v10, s15, v9
	v_lshrrev_b32_e32 v3, 8, v10
	v_bfe_u32 v6, v10, 20, 11
	v_lshrrev_b32_e32 v9, 16, v10
	v_and_or_b32 v10, v12, s15, v11
	v_cmp_ne_u32_e32 vcc, 0, v1
	v_cndmask_b32_e64 v1, 0, 1, vcc
	v_cmp_ne_u32_e32 vcc, 0, v10
	v_lshrrev_b32_e32 v11, 8, v12
	v_bfe_u32 v15, v12, 20, 11
	v_sub_u32_e32 v16, 0x3f1, v6
	v_cndmask_b32_e64 v10, 0, 1, vcc
	v_and_or_b32 v1, v3, s10, v1
	v_sub_u32_e32 v17, 0x3f1, v15
	v_med3_i32 v3, v16, 0, 13
	v_and_or_b32 v10, v11, s10, v10
	v_or_b32_e32 v16, 0x1000, v1
	v_add_u32_e32 v6, 0xfffffc10, v6
	v_med3_i32 v11, v17, 0, 13
	v_cmp_ne_u32_e32 vcc, 0, v1
	v_or_b32_e32 v18, 0x1000, v10
	v_lshrrev_b32_e32 v20, v3, v16
	v_add_u32_e32 v15, 0xfffffc10, v15
	v_lshl_or_b32 v17, v6, 12, v1
	v_cndmask_b32_e64 v1, 0, 1, vcc
	v_cmp_ne_u32_e32 vcc, 0, v10
	v_lshrrev_b32_e32 v21, v11, v18
	v_lshlrev_b32_e32 v3, v3, v20
	v_lshl_or_b32 v19, v15, 12, v10
	v_cndmask_b32_e64 v10, 0, 1, vcc
	v_lshlrev_b32_e32 v11, v11, v21
	v_cmp_ne_u32_e32 vcc, v3, v16
	v_cndmask_b32_e64 v3, 0, 1, vcc
	v_cmp_ne_u32_e32 vcc, v11, v18
	v_cndmask_b32_e64 v11, 0, 1, vcc
	v_or_b32_e32 v3, v20, v3
	v_cmp_gt_i32_e32 vcc, 1, v6
	v_cndmask_b32_e32 v3, v17, v3, vcc
	v_or_b32_e32 v11, v21, v11
	v_cmp_gt_i32_e32 vcc, 1, v15
	v_and_b32_e32 v16, 7, v3
	v_cndmask_b32_e32 v11, v19, v11, vcc
	v_cmp_lt_i32_e32 vcc, 5, v16
	v_cmp_eq_u32_e64 s[0:1], 3, v16
	v_lshrrev_b32_e32 v3, 2, v3
	v_and_b32_e32 v17, 7, v11
	s_or_b64 vcc, s[0:1], vcc
	v_cmp_lt_i32_e64 s[2:3], 5, v17
	v_cmp_eq_u32_e64 s[4:5], 3, v17
	v_addc_co_u32_e32 v3, vcc, 0, v3, vcc
	v_lshrrev_b32_e32 v11, 2, v11
	s_or_b64 vcc, s[4:5], s[2:3]
	v_addc_co_u32_e32 v11, vcc, 0, v11, vcc
	v_cmp_gt_i32_e32 vcc, 31, v6
	v_cndmask_b32_e32 v3, v2, v3, vcc
	v_cmp_gt_i32_e32 vcc, 31, v15
	v_lshl_or_b32 v1, v1, 9, v2
	v_cndmask_b32_e32 v11, v2, v11, vcc
	v_cmp_eq_u32_e32 vcc, s11, v6
	v_lshl_or_b32 v10, v10, 9, v2
	v_cndmask_b32_e32 v1, v3, v1, vcc
	v_cmp_eq_u32_e32 vcc, s11, v15
	v_lshrrev_b32_e32 v12, 16, v12
	v_cndmask_b32_e32 v3, v11, v10, vcc
	v_and_or_b32 v1, v9, s14, v1
	v_and_or_b32 v3, v12, s14, v3
	v_and_b32_e32 v1, 0xffff, v1
	v_lshl_or_b32 v1, v3, 16, v1
	global_store_dword v[13:14], v1, off
	global_load_dword v1, v[4:5], off offset:660
	ds_read2_b32 v[9:10], v44 offset0:165 offset1:207
	v_add_co_u32_e32 v13, vcc, s6, v13
	v_addc_co_u32_e32 v14, vcc, v14, v0, vcc
	s_waitcnt lgkmcnt(0)
	v_lshrrev_b32_e32 v3, 16, v9
	s_waitcnt vmcnt(0)
	v_mul_f16_sdwa v6, v3, v1 dst_sel:DWORD dst_unused:UNUSED_PAD src0_sel:DWORD src1_sel:WORD_1
	v_fma_f16 v6, v9, v1, v6
	v_mul_f16_sdwa v9, v9, v1 dst_sel:DWORD dst_unused:UNUSED_PAD src0_sel:DWORD src1_sel:WORD_1
	v_cvt_f32_f16_e32 v6, v6
	v_fma_f16 v1, v1, v3, -v9
	v_cvt_f32_f16_e32 v1, v1
	v_cvt_f64_f32_e32 v[11:12], v6
	v_cvt_f64_f32_e32 v[15:16], v1
	v_mul_f64 v[11:12], v[11:12], s[12:13]
	v_mul_f64 v[15:16], v[15:16], s[12:13]
	v_and_or_b32 v1, v12, s15, v11
	v_cmp_ne_u32_e32 vcc, 0, v1
	v_and_or_b32 v11, v16, s15, v15
	v_lshrrev_b32_e32 v3, 8, v12
	v_bfe_u32 v6, v12, 20, 11
	v_cndmask_b32_e64 v1, 0, 1, vcc
	v_cmp_ne_u32_e32 vcc, 0, v11
	v_lshrrev_b32_e32 v9, 16, v12
	v_lshrrev_b32_e32 v12, 8, v16
	v_bfe_u32 v15, v16, 20, 11
	v_sub_u32_e32 v17, 0x3f1, v6
	v_cndmask_b32_e64 v11, 0, 1, vcc
	v_and_or_b32 v1, v3, s10, v1
	v_sub_u32_e32 v18, 0x3f1, v15
	v_med3_i32 v3, v17, 0, 13
	v_and_or_b32 v11, v12, s10, v11
	v_or_b32_e32 v17, 0x1000, v1
	v_add_u32_e32 v6, 0xfffffc10, v6
	v_med3_i32 v12, v18, 0, 13
	v_cmp_ne_u32_e32 vcc, 0, v1
	v_or_b32_e32 v19, 0x1000, v11
	v_lshrrev_b32_e32 v21, v3, v17
	v_add_u32_e32 v15, 0xfffffc10, v15
	v_lshl_or_b32 v18, v6, 12, v1
	v_cndmask_b32_e64 v1, 0, 1, vcc
	v_cmp_ne_u32_e32 vcc, 0, v11
	v_lshrrev_b32_e32 v22, v12, v19
	v_lshlrev_b32_e32 v3, v3, v21
	v_lshl_or_b32 v20, v15, 12, v11
	v_cndmask_b32_e64 v11, 0, 1, vcc
	v_lshlrev_b32_e32 v12, v12, v22
	v_cmp_ne_u32_e32 vcc, v3, v17
	v_cndmask_b32_e64 v3, 0, 1, vcc
	v_cmp_ne_u32_e32 vcc, v12, v19
	v_cndmask_b32_e64 v12, 0, 1, vcc
	v_or_b32_e32 v3, v21, v3
	v_cmp_gt_i32_e32 vcc, 1, v6
	v_cndmask_b32_e32 v3, v18, v3, vcc
	v_or_b32_e32 v12, v22, v12
	v_cmp_gt_i32_e32 vcc, 1, v15
	v_and_b32_e32 v17, 7, v3
	v_cndmask_b32_e32 v12, v20, v12, vcc
	v_cmp_lt_i32_e32 vcc, 5, v17
	v_cmp_eq_u32_e64 s[0:1], 3, v17
	v_lshrrev_b32_e32 v3, 2, v3
	v_and_b32_e32 v18, 7, v12
	s_or_b64 vcc, s[0:1], vcc
	v_cmp_lt_i32_e64 s[2:3], 5, v18
	v_cmp_eq_u32_e64 s[4:5], 3, v18
	v_addc_co_u32_e32 v3, vcc, 0, v3, vcc
	v_lshrrev_b32_e32 v12, 2, v12
	s_or_b64 vcc, s[4:5], s[2:3]
	v_addc_co_u32_e32 v12, vcc, 0, v12, vcc
	v_cmp_gt_i32_e32 vcc, 31, v6
	v_cndmask_b32_e32 v3, v2, v3, vcc
	v_cmp_gt_i32_e32 vcc, 31, v15
	v_lshl_or_b32 v1, v1, 9, v2
	v_cndmask_b32_e32 v12, v2, v12, vcc
	v_cmp_eq_u32_e32 vcc, s11, v6
	v_lshl_or_b32 v11, v11, 9, v2
	v_cndmask_b32_e32 v1, v3, v1, vcc
	v_cmp_eq_u32_e32 vcc, s11, v15
	v_lshrrev_b32_e32 v16, 16, v16
	v_cndmask_b32_e32 v3, v12, v11, vcc
	v_and_or_b32 v1, v9, s14, v1
	v_and_or_b32 v3, v16, s14, v3
	v_and_b32_e32 v1, 0xffff, v1
	v_lshl_or_b32 v1, v3, 16, v1
	global_store_dword v[13:14], v1, off
	global_load_dword v1, v[4:5], off offset:828
	v_lshrrev_b32_e32 v3, 16, v10
	v_add_co_u32_e32 v13, vcc, s6, v13
	v_addc_co_u32_e32 v14, vcc, v14, v0, vcc
	s_waitcnt vmcnt(0)
	v_mul_f16_sdwa v6, v3, v1 dst_sel:DWORD dst_unused:UNUSED_PAD src0_sel:DWORD src1_sel:WORD_1
	v_fma_f16 v6, v10, v1, v6
	v_mul_f16_sdwa v9, v10, v1 dst_sel:DWORD dst_unused:UNUSED_PAD src0_sel:DWORD src1_sel:WORD_1
	v_cvt_f32_f16_e32 v6, v6
	v_fma_f16 v1, v1, v3, -v9
	v_cvt_f32_f16_e32 v1, v1
	v_cvt_f64_f32_e32 v[9:10], v6
	v_cvt_f64_f32_e32 v[11:12], v1
	v_mul_f64 v[9:10], v[9:10], s[12:13]
	v_mul_f64 v[11:12], v[11:12], s[12:13]
	v_and_or_b32 v1, v10, s15, v9
	v_lshrrev_b32_e32 v3, 8, v10
	v_bfe_u32 v6, v10, 20, 11
	v_lshrrev_b32_e32 v9, 16, v10
	v_and_or_b32 v10, v12, s15, v11
	v_cmp_ne_u32_e32 vcc, 0, v1
	v_cndmask_b32_e64 v1, 0, 1, vcc
	v_cmp_ne_u32_e32 vcc, 0, v10
	v_lshrrev_b32_e32 v11, 8, v12
	v_bfe_u32 v15, v12, 20, 11
	v_sub_u32_e32 v16, 0x3f1, v6
	v_cndmask_b32_e64 v10, 0, 1, vcc
	v_and_or_b32 v1, v3, s10, v1
	v_sub_u32_e32 v17, 0x3f1, v15
	v_med3_i32 v3, v16, 0, 13
	v_and_or_b32 v10, v11, s10, v10
	v_or_b32_e32 v16, 0x1000, v1
	v_add_u32_e32 v6, 0xfffffc10, v6
	v_med3_i32 v11, v17, 0, 13
	v_cmp_ne_u32_e32 vcc, 0, v1
	v_or_b32_e32 v18, 0x1000, v10
	v_lshrrev_b32_e32 v20, v3, v16
	v_add_u32_e32 v15, 0xfffffc10, v15
	v_lshl_or_b32 v17, v6, 12, v1
	v_cndmask_b32_e64 v1, 0, 1, vcc
	v_cmp_ne_u32_e32 vcc, 0, v10
	v_lshrrev_b32_e32 v21, v11, v18
	v_lshlrev_b32_e32 v3, v3, v20
	v_lshl_or_b32 v19, v15, 12, v10
	v_cndmask_b32_e64 v10, 0, 1, vcc
	v_lshlrev_b32_e32 v11, v11, v21
	v_cmp_ne_u32_e32 vcc, v3, v16
	v_cndmask_b32_e64 v3, 0, 1, vcc
	v_cmp_ne_u32_e32 vcc, v11, v18
	v_cndmask_b32_e64 v11, 0, 1, vcc
	v_or_b32_e32 v3, v20, v3
	v_cmp_gt_i32_e32 vcc, 1, v6
	v_cndmask_b32_e32 v3, v17, v3, vcc
	v_or_b32_e32 v11, v21, v11
	v_cmp_gt_i32_e32 vcc, 1, v15
	v_and_b32_e32 v16, 7, v3
	v_cndmask_b32_e32 v11, v19, v11, vcc
	v_cmp_lt_i32_e32 vcc, 5, v16
	v_cmp_eq_u32_e64 s[0:1], 3, v16
	v_lshrrev_b32_e32 v3, 2, v3
	v_and_b32_e32 v17, 7, v11
	s_or_b64 vcc, s[0:1], vcc
	v_cmp_lt_i32_e64 s[2:3], 5, v17
	v_cmp_eq_u32_e64 s[4:5], 3, v17
	v_addc_co_u32_e32 v3, vcc, 0, v3, vcc
	v_lshrrev_b32_e32 v11, 2, v11
	s_or_b64 vcc, s[4:5], s[2:3]
	v_addc_co_u32_e32 v11, vcc, 0, v11, vcc
	v_cmp_gt_i32_e32 vcc, 31, v6
	v_cndmask_b32_e32 v3, v2, v3, vcc
	v_cmp_gt_i32_e32 vcc, 31, v15
	v_lshl_or_b32 v1, v1, 9, v2
	v_cndmask_b32_e32 v11, v2, v11, vcc
	v_cmp_eq_u32_e32 vcc, s11, v6
	v_lshl_or_b32 v10, v10, 9, v2
	v_cndmask_b32_e32 v1, v3, v1, vcc
	v_cmp_eq_u32_e32 vcc, s11, v15
	v_lshrrev_b32_e32 v12, 16, v12
	v_cndmask_b32_e32 v3, v11, v10, vcc
	v_and_or_b32 v1, v9, s14, v1
	v_and_or_b32 v3, v12, s14, v3
	v_and_b32_e32 v1, 0xffff, v1
	v_lshl_or_b32 v1, v3, 16, v1
	global_store_dword v[13:14], v1, off
	global_load_dword v1, v[4:5], off offset:996
	ds_read2_b32 v[8:9], v8 offset0:121 offset1:163
	v_add_co_u32_e32 v12, vcc, s6, v13
	v_addc_co_u32_e32 v13, vcc, v14, v0, vcc
	s_waitcnt lgkmcnt(0)
	v_lshrrev_b32_e32 v3, 16, v8
	s_waitcnt vmcnt(0)
	v_mul_f16_sdwa v6, v3, v1 dst_sel:DWORD dst_unused:UNUSED_PAD src0_sel:DWORD src1_sel:WORD_1
	v_fma_f16 v6, v8, v1, v6
	v_mul_f16_sdwa v8, v8, v1 dst_sel:DWORD dst_unused:UNUSED_PAD src0_sel:DWORD src1_sel:WORD_1
	v_cvt_f32_f16_e32 v6, v6
	v_fma_f16 v1, v1, v3, -v8
	v_cvt_f32_f16_e32 v1, v1
	v_cvt_f64_f32_e32 v[10:11], v6
	v_cvt_f64_f32_e32 v[15:16], v1
	v_mul_f64 v[10:11], v[10:11], s[12:13]
	v_mul_f64 v[15:16], v[15:16], s[12:13]
	v_and_or_b32 v1, v11, s15, v10
	v_cmp_ne_u32_e32 vcc, 0, v1
	v_and_or_b32 v10, v16, s15, v15
	v_lshrrev_b32_e32 v3, 8, v11
	v_bfe_u32 v6, v11, 20, 11
	v_cndmask_b32_e64 v1, 0, 1, vcc
	v_cmp_ne_u32_e32 vcc, 0, v10
	v_lshrrev_b32_e32 v8, 16, v11
	v_lshrrev_b32_e32 v11, 8, v16
	v_bfe_u32 v14, v16, 20, 11
	v_lshrrev_b32_e32 v15, 16, v16
	v_sub_u32_e32 v16, 0x3f1, v6
	v_cndmask_b32_e64 v10, 0, 1, vcc
	v_and_or_b32 v1, v3, s10, v1
	v_sub_u32_e32 v17, 0x3f1, v14
	v_med3_i32 v3, v16, 0, 13
	v_and_or_b32 v10, v11, s10, v10
	v_or_b32_e32 v16, 0x1000, v1
	v_add_u32_e32 v6, 0xfffffc10, v6
	v_med3_i32 v11, v17, 0, 13
	v_cmp_ne_u32_e32 vcc, 0, v1
	v_or_b32_e32 v18, 0x1000, v10
	v_lshrrev_b32_e32 v20, v3, v16
	v_add_u32_e32 v14, 0xfffffc10, v14
	v_lshl_or_b32 v17, v6, 12, v1
	v_cndmask_b32_e64 v1, 0, 1, vcc
	v_cmp_ne_u32_e32 vcc, 0, v10
	v_lshrrev_b32_e32 v21, v11, v18
	v_lshlrev_b32_e32 v3, v3, v20
	v_lshl_or_b32 v19, v14, 12, v10
	v_cndmask_b32_e64 v10, 0, 1, vcc
	v_lshlrev_b32_e32 v11, v11, v21
	v_cmp_ne_u32_e32 vcc, v3, v16
	v_cndmask_b32_e64 v3, 0, 1, vcc
	v_cmp_ne_u32_e32 vcc, v11, v18
	v_cndmask_b32_e64 v11, 0, 1, vcc
	v_or_b32_e32 v3, v20, v3
	v_cmp_gt_i32_e32 vcc, 1, v6
	v_cndmask_b32_e32 v3, v17, v3, vcc
	v_or_b32_e32 v11, v21, v11
	v_cmp_gt_i32_e32 vcc, 1, v14
	v_and_b32_e32 v16, 7, v3
	v_cndmask_b32_e32 v11, v19, v11, vcc
	v_cmp_lt_i32_e32 vcc, 5, v16
	v_cmp_eq_u32_e64 s[0:1], 3, v16
	v_lshrrev_b32_e32 v3, 2, v3
	v_and_b32_e32 v17, 7, v11
	s_or_b64 vcc, s[0:1], vcc
	v_cmp_lt_i32_e64 s[2:3], 5, v17
	v_cmp_eq_u32_e64 s[4:5], 3, v17
	v_addc_co_u32_e32 v3, vcc, 0, v3, vcc
	v_lshrrev_b32_e32 v11, 2, v11
	s_or_b64 vcc, s[4:5], s[2:3]
	v_addc_co_u32_e32 v11, vcc, 0, v11, vcc
	v_cmp_gt_i32_e32 vcc, 31, v6
	v_cndmask_b32_e32 v3, v2, v3, vcc
	v_cmp_gt_i32_e32 vcc, 31, v14
	v_lshl_or_b32 v1, v1, 9, v2
	v_cndmask_b32_e32 v11, v2, v11, vcc
	v_cmp_eq_u32_e32 vcc, s11, v6
	v_lshl_or_b32 v10, v10, 9, v2
	v_cndmask_b32_e32 v1, v3, v1, vcc
	v_cmp_eq_u32_e32 vcc, s11, v14
	v_cndmask_b32_e32 v3, v11, v10, vcc
	v_and_or_b32 v1, v8, s14, v1
	v_and_or_b32 v3, v15, s14, v3
	v_and_b32_e32 v1, 0xffff, v1
	v_lshl_or_b32 v1, v3, 16, v1
	global_store_dword v[12:13], v1, off
	global_load_dword v1, v[4:5], off offset:1164
	v_lshrrev_b32_e32 v3, 16, v9
	v_add_co_u32_e32 v12, vcc, s6, v12
	v_addc_co_u32_e32 v13, vcc, v13, v0, vcc
	s_waitcnt vmcnt(0)
	v_mul_f16_sdwa v6, v3, v1 dst_sel:DWORD dst_unused:UNUSED_PAD src0_sel:DWORD src1_sel:WORD_1
	v_fma_f16 v6, v9, v1, v6
	v_mul_f16_sdwa v8, v9, v1 dst_sel:DWORD dst_unused:UNUSED_PAD src0_sel:DWORD src1_sel:WORD_1
	v_cvt_f32_f16_e32 v6, v6
	v_fma_f16 v1, v1, v3, -v8
	v_cvt_f32_f16_e32 v1, v1
	v_cvt_f64_f32_e32 v[8:9], v6
	v_cvt_f64_f32_e32 v[10:11], v1
	v_mul_f64 v[8:9], v[8:9], s[12:13]
	v_mul_f64 v[10:11], v[10:11], s[12:13]
	v_and_or_b32 v1, v9, s15, v8
	v_lshrrev_b32_e32 v3, 8, v9
	v_bfe_u32 v6, v9, 20, 11
	v_lshrrev_b32_e32 v8, 16, v9
	v_and_or_b32 v9, v11, s15, v10
	v_cmp_ne_u32_e32 vcc, 0, v1
	v_cndmask_b32_e64 v1, 0, 1, vcc
	v_cmp_ne_u32_e32 vcc, 0, v9
	v_lshrrev_b32_e32 v10, 8, v11
	v_bfe_u32 v14, v11, 20, 11
	v_sub_u32_e32 v15, 0x3f1, v6
	v_cndmask_b32_e64 v9, 0, 1, vcc
	v_and_or_b32 v1, v3, s10, v1
	v_sub_u32_e32 v16, 0x3f1, v14
	v_med3_i32 v3, v15, 0, 13
	v_and_or_b32 v9, v10, s10, v9
	v_or_b32_e32 v15, 0x1000, v1
	v_add_u32_e32 v6, 0xfffffc10, v6
	v_med3_i32 v10, v16, 0, 13
	v_cmp_ne_u32_e32 vcc, 0, v1
	v_or_b32_e32 v17, 0x1000, v9
	v_lshrrev_b32_e32 v19, v3, v15
	v_add_u32_e32 v14, 0xfffffc10, v14
	v_lshl_or_b32 v16, v6, 12, v1
	v_cndmask_b32_e64 v1, 0, 1, vcc
	v_cmp_ne_u32_e32 vcc, 0, v9
	v_lshrrev_b32_e32 v20, v10, v17
	v_lshlrev_b32_e32 v3, v3, v19
	v_lshl_or_b32 v18, v14, 12, v9
	v_cndmask_b32_e64 v9, 0, 1, vcc
	v_lshlrev_b32_e32 v10, v10, v20
	v_cmp_ne_u32_e32 vcc, v3, v15
	v_cndmask_b32_e64 v3, 0, 1, vcc
	v_cmp_ne_u32_e32 vcc, v10, v17
	v_cndmask_b32_e64 v10, 0, 1, vcc
	v_or_b32_e32 v3, v19, v3
	v_cmp_gt_i32_e32 vcc, 1, v6
	v_cndmask_b32_e32 v3, v16, v3, vcc
	v_or_b32_e32 v10, v20, v10
	v_cmp_gt_i32_e32 vcc, 1, v14
	v_and_b32_e32 v15, 7, v3
	v_cndmask_b32_e32 v10, v18, v10, vcc
	v_cmp_lt_i32_e32 vcc, 5, v15
	v_cmp_eq_u32_e64 s[0:1], 3, v15
	v_lshrrev_b32_e32 v3, 2, v3
	v_and_b32_e32 v16, 7, v10
	s_or_b64 vcc, s[0:1], vcc
	v_cmp_lt_i32_e64 s[2:3], 5, v16
	v_cmp_eq_u32_e64 s[4:5], 3, v16
	v_addc_co_u32_e32 v3, vcc, 0, v3, vcc
	v_lshrrev_b32_e32 v10, 2, v10
	s_or_b64 vcc, s[4:5], s[2:3]
	v_addc_co_u32_e32 v10, vcc, 0, v10, vcc
	v_cmp_gt_i32_e32 vcc, 31, v6
	v_cndmask_b32_e32 v3, v2, v3, vcc
	v_cmp_gt_i32_e32 vcc, 31, v14
	v_lshl_or_b32 v1, v1, 9, v2
	v_cndmask_b32_e32 v10, v2, v10, vcc
	v_cmp_eq_u32_e32 vcc, s11, v6
	v_lshl_or_b32 v9, v9, 9, v2
	v_cndmask_b32_e32 v1, v3, v1, vcc
	v_cmp_eq_u32_e32 vcc, s11, v14
	v_lshrrev_b32_e32 v11, 16, v11
	v_cndmask_b32_e32 v3, v10, v9, vcc
	v_and_or_b32 v1, v8, s14, v1
	v_and_or_b32 v3, v11, s14, v3
	v_and_b32_e32 v1, 0xffff, v1
	v_lshl_or_b32 v1, v3, 16, v1
	global_store_dword v[12:13], v1, off
	global_load_dword v1, v[4:5], off offset:1332
	ds_read2_b32 v[8:9], v7 offset0:77 offset1:119
	v_add_co_u32_e32 v12, vcc, s6, v12
	v_addc_co_u32_e32 v13, vcc, v13, v0, vcc
	s_waitcnt lgkmcnt(0)
	v_lshrrev_b32_e32 v3, 16, v8
	s_waitcnt vmcnt(0)
	v_mul_f16_sdwa v6, v3, v1 dst_sel:DWORD dst_unused:UNUSED_PAD src0_sel:DWORD src1_sel:WORD_1
	v_fma_f16 v6, v8, v1, v6
	v_mul_f16_sdwa v8, v8, v1 dst_sel:DWORD dst_unused:UNUSED_PAD src0_sel:DWORD src1_sel:WORD_1
	v_cvt_f32_f16_e32 v6, v6
	v_fma_f16 v1, v1, v3, -v8
	v_cvt_f32_f16_e32 v1, v1
	v_cvt_f64_f32_e32 v[10:11], v6
	v_cvt_f64_f32_e32 v[14:15], v1
	v_mul_f64 v[10:11], v[10:11], s[12:13]
	v_mul_f64 v[14:15], v[14:15], s[12:13]
	v_and_or_b32 v1, v11, s15, v10
	v_cmp_ne_u32_e32 vcc, 0, v1
	v_and_or_b32 v10, v15, s15, v14
	v_lshrrev_b32_e32 v3, 8, v11
	v_bfe_u32 v6, v11, 20, 11
	v_cndmask_b32_e64 v1, 0, 1, vcc
	v_cmp_ne_u32_e32 vcc, 0, v10
	v_lshrrev_b32_e32 v8, 16, v11
	v_lshrrev_b32_e32 v11, 8, v15
	v_bfe_u32 v14, v15, 20, 11
	v_sub_u32_e32 v16, 0x3f1, v6
	v_cndmask_b32_e64 v10, 0, 1, vcc
	v_and_or_b32 v1, v3, s10, v1
	v_sub_u32_e32 v17, 0x3f1, v14
	v_med3_i32 v3, v16, 0, 13
	v_and_or_b32 v10, v11, s10, v10
	v_or_b32_e32 v16, 0x1000, v1
	v_add_u32_e32 v6, 0xfffffc10, v6
	v_med3_i32 v11, v17, 0, 13
	v_cmp_ne_u32_e32 vcc, 0, v1
	v_or_b32_e32 v18, 0x1000, v10
	v_lshrrev_b32_e32 v20, v3, v16
	v_add_u32_e32 v14, 0xfffffc10, v14
	v_lshl_or_b32 v17, v6, 12, v1
	v_cndmask_b32_e64 v1, 0, 1, vcc
	v_cmp_ne_u32_e32 vcc, 0, v10
	v_lshrrev_b32_e32 v21, v11, v18
	v_lshlrev_b32_e32 v3, v3, v20
	v_lshl_or_b32 v19, v14, 12, v10
	v_cndmask_b32_e64 v10, 0, 1, vcc
	v_lshlrev_b32_e32 v11, v11, v21
	v_cmp_ne_u32_e32 vcc, v3, v16
	v_cndmask_b32_e64 v3, 0, 1, vcc
	v_cmp_ne_u32_e32 vcc, v11, v18
	v_cndmask_b32_e64 v11, 0, 1, vcc
	v_or_b32_e32 v3, v20, v3
	v_cmp_gt_i32_e32 vcc, 1, v6
	v_cndmask_b32_e32 v3, v17, v3, vcc
	v_or_b32_e32 v11, v21, v11
	v_cmp_gt_i32_e32 vcc, 1, v14
	v_and_b32_e32 v16, 7, v3
	v_cndmask_b32_e32 v11, v19, v11, vcc
	v_cmp_lt_i32_e32 vcc, 5, v16
	v_cmp_eq_u32_e64 s[0:1], 3, v16
	v_lshrrev_b32_e32 v3, 2, v3
	v_and_b32_e32 v17, 7, v11
	s_or_b64 vcc, s[0:1], vcc
	v_cmp_lt_i32_e64 s[2:3], 5, v17
	v_cmp_eq_u32_e64 s[4:5], 3, v17
	v_addc_co_u32_e32 v3, vcc, 0, v3, vcc
	v_lshrrev_b32_e32 v11, 2, v11
	s_or_b64 vcc, s[4:5], s[2:3]
	v_addc_co_u32_e32 v11, vcc, 0, v11, vcc
	v_cmp_gt_i32_e32 vcc, 31, v6
	v_cndmask_b32_e32 v3, v2, v3, vcc
	v_cmp_gt_i32_e32 vcc, 31, v14
	v_lshl_or_b32 v1, v1, 9, v2
	v_cndmask_b32_e32 v11, v2, v11, vcc
	v_cmp_eq_u32_e32 vcc, s11, v6
	v_lshl_or_b32 v10, v10, 9, v2
	v_cndmask_b32_e32 v1, v3, v1, vcc
	v_cmp_eq_u32_e32 vcc, s11, v14
	v_lshrrev_b32_e32 v15, 16, v15
	v_cndmask_b32_e32 v3, v11, v10, vcc
	v_and_or_b32 v1, v8, s14, v1
	v_and_or_b32 v3, v15, s14, v3
	v_and_b32_e32 v1, 0xffff, v1
	v_lshl_or_b32 v1, v3, 16, v1
	global_store_dword v[12:13], v1, off
	global_load_dword v1, v[4:5], off offset:1500
	v_lshrrev_b32_e32 v3, 16, v9
	v_add_co_u32_e32 v12, vcc, s6, v12
	v_addc_co_u32_e32 v13, vcc, v13, v0, vcc
	s_waitcnt vmcnt(0)
	v_mul_f16_sdwa v6, v3, v1 dst_sel:DWORD dst_unused:UNUSED_PAD src0_sel:DWORD src1_sel:WORD_1
	v_fma_f16 v6, v9, v1, v6
	v_mul_f16_sdwa v8, v9, v1 dst_sel:DWORD dst_unused:UNUSED_PAD src0_sel:DWORD src1_sel:WORD_1
	v_cvt_f32_f16_e32 v6, v6
	v_fma_f16 v1, v1, v3, -v8
	v_cvt_f32_f16_e32 v1, v1
	v_cvt_f64_f32_e32 v[8:9], v6
	v_cvt_f64_f32_e32 v[10:11], v1
	v_mul_f64 v[8:9], v[8:9], s[12:13]
	v_mul_f64 v[10:11], v[10:11], s[12:13]
	v_and_or_b32 v1, v9, s15, v8
	v_lshrrev_b32_e32 v3, 8, v9
	v_bfe_u32 v6, v9, 20, 11
	v_lshrrev_b32_e32 v8, 16, v9
	v_and_or_b32 v9, v11, s15, v10
	v_cmp_ne_u32_e32 vcc, 0, v1
	v_cndmask_b32_e64 v1, 0, 1, vcc
	v_cmp_ne_u32_e32 vcc, 0, v9
	v_lshrrev_b32_e32 v10, 8, v11
	v_bfe_u32 v14, v11, 20, 11
	v_sub_u32_e32 v15, 0x3f1, v6
	v_cndmask_b32_e64 v9, 0, 1, vcc
	v_and_or_b32 v1, v3, s10, v1
	v_sub_u32_e32 v16, 0x3f1, v14
	v_med3_i32 v3, v15, 0, 13
	v_and_or_b32 v9, v10, s10, v9
	v_or_b32_e32 v15, 0x1000, v1
	v_add_u32_e32 v6, 0xfffffc10, v6
	v_med3_i32 v10, v16, 0, 13
	v_cmp_ne_u32_e32 vcc, 0, v1
	v_or_b32_e32 v17, 0x1000, v9
	v_lshrrev_b32_e32 v19, v3, v15
	v_add_u32_e32 v14, 0xfffffc10, v14
	v_lshl_or_b32 v16, v6, 12, v1
	v_cndmask_b32_e64 v1, 0, 1, vcc
	v_cmp_ne_u32_e32 vcc, 0, v9
	v_lshrrev_b32_e32 v20, v10, v17
	v_lshlrev_b32_e32 v3, v3, v19
	v_lshl_or_b32 v18, v14, 12, v9
	v_cndmask_b32_e64 v9, 0, 1, vcc
	v_lshlrev_b32_e32 v10, v10, v20
	v_cmp_ne_u32_e32 vcc, v3, v15
	v_cndmask_b32_e64 v3, 0, 1, vcc
	v_cmp_ne_u32_e32 vcc, v10, v17
	v_cndmask_b32_e64 v10, 0, 1, vcc
	v_or_b32_e32 v3, v19, v3
	v_cmp_gt_i32_e32 vcc, 1, v6
	v_cndmask_b32_e32 v3, v16, v3, vcc
	v_or_b32_e32 v10, v20, v10
	v_cmp_gt_i32_e32 vcc, 1, v14
	v_and_b32_e32 v15, 7, v3
	v_cndmask_b32_e32 v10, v18, v10, vcc
	v_cmp_lt_i32_e32 vcc, 5, v15
	v_cmp_eq_u32_e64 s[0:1], 3, v15
	v_lshrrev_b32_e32 v3, 2, v3
	v_and_b32_e32 v16, 7, v10
	s_or_b64 vcc, s[0:1], vcc
	v_cmp_lt_i32_e64 s[2:3], 5, v16
	v_cmp_eq_u32_e64 s[4:5], 3, v16
	v_addc_co_u32_e32 v3, vcc, 0, v3, vcc
	v_lshrrev_b32_e32 v10, 2, v10
	s_or_b64 vcc, s[4:5], s[2:3]
	v_addc_co_u32_e32 v10, vcc, 0, v10, vcc
	v_cmp_gt_i32_e32 vcc, 31, v6
	v_cndmask_b32_e32 v3, v2, v3, vcc
	v_cmp_gt_i32_e32 vcc, 31, v14
	v_lshl_or_b32 v1, v1, 9, v2
	v_cndmask_b32_e32 v10, v2, v10, vcc
	v_cmp_eq_u32_e32 vcc, s11, v6
	v_lshl_or_b32 v9, v9, 9, v2
	v_cndmask_b32_e32 v1, v3, v1, vcc
	v_cmp_eq_u32_e32 vcc, s11, v14
	v_lshrrev_b32_e32 v11, 16, v11
	v_cndmask_b32_e32 v3, v10, v9, vcc
	v_and_or_b32 v1, v8, s14, v1
	v_and_or_b32 v3, v11, s14, v3
	v_and_b32_e32 v1, 0xffff, v1
	v_lshl_or_b32 v1, v3, 16, v1
	global_store_dword v[12:13], v1, off
	global_load_dword v1, v[4:5], off offset:1668
	ds_read2_b32 v[6:7], v7 offset0:161 offset1:203
	v_add_co_u32_e32 v12, vcc, s6, v12
	v_addc_co_u32_e32 v13, vcc, v13, v0, vcc
	s_waitcnt lgkmcnt(0)
	v_lshrrev_b32_e32 v3, 16, v6
	s_waitcnt vmcnt(0)
	v_mul_f16_sdwa v8, v3, v1 dst_sel:DWORD dst_unused:UNUSED_PAD src0_sel:DWORD src1_sel:WORD_1
	v_fma_f16 v8, v6, v1, v8
	v_mul_f16_sdwa v6, v6, v1 dst_sel:DWORD dst_unused:UNUSED_PAD src0_sel:DWORD src1_sel:WORD_1
	v_cvt_f32_f16_e32 v8, v8
	v_fma_f16 v1, v1, v3, -v6
	v_cvt_f32_f16_e32 v1, v1
	v_cvt_f64_f32_e32 v[8:9], v8
	v_cvt_f64_f32_e32 v[10:11], v1
	v_mul_f64 v[8:9], v[8:9], s[12:13]
	v_mul_f64 v[10:11], v[10:11], s[12:13]
	v_and_or_b32 v1, v9, s15, v8
	v_lshrrev_b32_e32 v3, 8, v9
	v_bfe_u32 v6, v9, 20, 11
	v_lshrrev_b32_e32 v8, 16, v9
	v_and_or_b32 v9, v11, s15, v10
	v_cmp_ne_u32_e32 vcc, 0, v1
	v_cndmask_b32_e64 v1, 0, 1, vcc
	v_cmp_ne_u32_e32 vcc, 0, v9
	v_lshrrev_b32_e32 v10, 8, v11
	v_bfe_u32 v14, v11, 20, 11
	v_sub_u32_e32 v15, 0x3f1, v6
	v_cndmask_b32_e64 v9, 0, 1, vcc
	v_and_or_b32 v1, v3, s10, v1
	v_sub_u32_e32 v16, 0x3f1, v14
	v_med3_i32 v3, v15, 0, 13
	v_and_or_b32 v9, v10, s10, v9
	v_or_b32_e32 v15, 0x1000, v1
	v_add_u32_e32 v6, 0xfffffc10, v6
	v_med3_i32 v10, v16, 0, 13
	v_cmp_ne_u32_e32 vcc, 0, v1
	v_or_b32_e32 v17, 0x1000, v9
	v_lshrrev_b32_e32 v19, v3, v15
	v_add_u32_e32 v14, 0xfffffc10, v14
	v_lshl_or_b32 v16, v6, 12, v1
	v_cndmask_b32_e64 v1, 0, 1, vcc
	v_cmp_ne_u32_e32 vcc, 0, v9
	v_lshrrev_b32_e32 v20, v10, v17
	v_lshlrev_b32_e32 v3, v3, v19
	v_lshl_or_b32 v18, v14, 12, v9
	v_cndmask_b32_e64 v9, 0, 1, vcc
	v_lshlrev_b32_e32 v10, v10, v20
	v_cmp_ne_u32_e32 vcc, v3, v15
	v_cndmask_b32_e64 v3, 0, 1, vcc
	v_cmp_ne_u32_e32 vcc, v10, v17
	v_cndmask_b32_e64 v10, 0, 1, vcc
	v_or_b32_e32 v3, v19, v3
	v_cmp_gt_i32_e32 vcc, 1, v6
	v_cndmask_b32_e32 v3, v16, v3, vcc
	v_or_b32_e32 v10, v20, v10
	v_cmp_gt_i32_e32 vcc, 1, v14
	v_and_b32_e32 v15, 7, v3
	v_cndmask_b32_e32 v10, v18, v10, vcc
	v_cmp_lt_i32_e32 vcc, 5, v15
	v_cmp_eq_u32_e64 s[0:1], 3, v15
	v_lshrrev_b32_e32 v3, 2, v3
	v_and_b32_e32 v16, 7, v10
	s_or_b64 vcc, s[0:1], vcc
	v_cmp_lt_i32_e64 s[2:3], 5, v16
	v_cmp_eq_u32_e64 s[4:5], 3, v16
	v_addc_co_u32_e32 v3, vcc, 0, v3, vcc
	v_lshrrev_b32_e32 v10, 2, v10
	s_or_b64 vcc, s[4:5], s[2:3]
	v_addc_co_u32_e32 v10, vcc, 0, v10, vcc
	v_cmp_gt_i32_e32 vcc, 31, v6
	v_cndmask_b32_e32 v3, v2, v3, vcc
	v_cmp_gt_i32_e32 vcc, 31, v14
	v_lshl_or_b32 v1, v1, 9, v2
	v_cndmask_b32_e32 v10, v2, v10, vcc
	v_cmp_eq_u32_e32 vcc, s11, v6
	v_lshl_or_b32 v9, v9, 9, v2
	v_cndmask_b32_e32 v1, v3, v1, vcc
	v_cmp_eq_u32_e32 vcc, s11, v14
	v_lshrrev_b32_e32 v11, 16, v11
	v_cndmask_b32_e32 v3, v10, v9, vcc
	v_and_or_b32 v1, v8, s14, v1
	v_and_or_b32 v3, v11, s14, v3
	v_and_b32_e32 v1, 0xffff, v1
	v_lshl_or_b32 v1, v3, 16, v1
	global_store_dword v[12:13], v1, off
	global_load_dword v1, v[4:5], off offset:1836
	v_lshrrev_b32_e32 v3, 16, v7
	v_add_co_u32_e32 v10, vcc, s6, v12
	v_addc_co_u32_e32 v11, vcc, v13, v0, vcc
	s_waitcnt vmcnt(0)
	v_mul_f16_sdwa v6, v3, v1 dst_sel:DWORD dst_unused:UNUSED_PAD src0_sel:DWORD src1_sel:WORD_1
	v_fma_f16 v6, v7, v1, v6
	v_mul_f16_sdwa v7, v7, v1 dst_sel:DWORD dst_unused:UNUSED_PAD src0_sel:DWORD src1_sel:WORD_1
	v_cvt_f32_f16_e32 v6, v6
	v_fma_f16 v1, v1, v3, -v7
	v_cvt_f32_f16_e32 v1, v1
	v_cvt_f64_f32_e32 v[6:7], v6
	v_cvt_f64_f32_e32 v[8:9], v1
	v_mul_f64 v[6:7], v[6:7], s[12:13]
	v_mul_f64 v[8:9], v[8:9], s[12:13]
	v_and_or_b32 v1, v7, s15, v6
	v_cmp_ne_u32_e32 vcc, 0, v1
	v_and_or_b32 v8, v9, s15, v8
	v_lshrrev_b32_e32 v3, 8, v7
	v_bfe_u32 v6, v7, 20, 11
	v_cndmask_b32_e64 v1, 0, 1, vcc
	v_cmp_ne_u32_e32 vcc, 0, v8
	v_lshrrev_b32_e32 v12, 8, v9
	v_bfe_u32 v13, v9, 20, 11
	v_sub_u32_e32 v14, 0x3f1, v6
	v_cndmask_b32_e64 v8, 0, 1, vcc
	v_and_or_b32 v1, v3, s10, v1
	v_sub_u32_e32 v15, 0x3f1, v13
	v_med3_i32 v3, v14, 0, 13
	v_and_or_b32 v8, v12, s10, v8
	v_or_b32_e32 v14, 0x1000, v1
	v_add_u32_e32 v6, 0xfffffc10, v6
	v_med3_i32 v12, v15, 0, 13
	v_cmp_ne_u32_e32 vcc, 0, v1
	v_or_b32_e32 v16, 0x1000, v8
	v_lshrrev_b32_e32 v18, v3, v14
	v_add_u32_e32 v13, 0xfffffc10, v13
	v_lshl_or_b32 v15, v6, 12, v1
	v_cndmask_b32_e64 v1, 0, 1, vcc
	v_cmp_ne_u32_e32 vcc, 0, v8
	v_lshrrev_b32_e32 v19, v12, v16
	v_lshlrev_b32_e32 v3, v3, v18
	v_lshl_or_b32 v17, v13, 12, v8
	v_cndmask_b32_e64 v8, 0, 1, vcc
	v_lshlrev_b32_e32 v12, v12, v19
	v_cmp_ne_u32_e32 vcc, v3, v14
	v_cndmask_b32_e64 v3, 0, 1, vcc
	v_cmp_ne_u32_e32 vcc, v12, v16
	v_cndmask_b32_e64 v12, 0, 1, vcc
	v_or_b32_e32 v3, v18, v3
	v_cmp_gt_i32_e32 vcc, 1, v6
	v_cndmask_b32_e32 v3, v15, v3, vcc
	v_or_b32_e32 v12, v19, v12
	v_cmp_gt_i32_e32 vcc, 1, v13
	v_and_b32_e32 v14, 7, v3
	v_cndmask_b32_e32 v12, v17, v12, vcc
	v_cmp_lt_i32_e32 vcc, 5, v14
	v_cmp_eq_u32_e64 s[0:1], 3, v14
	v_lshrrev_b32_e32 v3, 2, v3
	v_and_b32_e32 v15, 7, v12
	s_or_b64 vcc, s[0:1], vcc
	v_cmp_lt_i32_e64 s[2:3], 5, v15
	v_cmp_eq_u32_e64 s[4:5], 3, v15
	v_addc_co_u32_e32 v3, vcc, 0, v3, vcc
	v_lshrrev_b32_e32 v12, 2, v12
	s_or_b64 vcc, s[4:5], s[2:3]
	v_addc_co_u32_e32 v12, vcc, 0, v12, vcc
	v_cmp_gt_i32_e32 vcc, 31, v6
	v_cndmask_b32_e32 v3, v2, v3, vcc
	v_cmp_gt_i32_e32 vcc, 31, v13
	v_lshl_or_b32 v1, v1, 9, v2
	v_cndmask_b32_e32 v12, v2, v12, vcc
	v_cmp_eq_u32_e32 vcc, s11, v6
	v_lshrrev_b32_e32 v7, 16, v7
	v_lshl_or_b32 v8, v8, 9, v2
	v_cndmask_b32_e32 v1, v3, v1, vcc
	v_cmp_eq_u32_e32 vcc, s11, v13
	v_lshrrev_b32_e32 v9, 16, v9
	v_cndmask_b32_e32 v3, v12, v8, vcc
	v_and_or_b32 v1, v7, s14, v1
	v_and_or_b32 v3, v9, s14, v3
	v_and_b32_e32 v1, 0xffff, v1
	v_lshl_or_b32 v1, v3, 16, v1
	global_store_dword v[10:11], v1, off
	global_load_dword v1, v[4:5], off offset:2004
	v_add_u32_e32 v3, 0x600, v44
	ds_read2_b32 v[6:7], v3 offset0:117 offset1:159
	v_add_co_u32_e32 v10, vcc, s6, v10
	v_addc_co_u32_e32 v11, vcc, v11, v0, vcc
	s_waitcnt lgkmcnt(0)
	v_lshrrev_b32_e32 v3, 16, v6
	s_waitcnt vmcnt(0)
	v_mul_f16_sdwa v8, v3, v1 dst_sel:DWORD dst_unused:UNUSED_PAD src0_sel:DWORD src1_sel:WORD_1
	v_fma_f16 v8, v6, v1, v8
	v_mul_f16_sdwa v6, v6, v1 dst_sel:DWORD dst_unused:UNUSED_PAD src0_sel:DWORD src1_sel:WORD_1
	v_cvt_f32_f16_e32 v8, v8
	v_fma_f16 v1, v1, v3, -v6
	v_cvt_f32_f16_e32 v1, v1
	v_cvt_f64_f32_e32 v[8:9], v8
	v_cvt_f64_f32_e32 v[12:13], v1
	v_mul_f64 v[8:9], v[8:9], s[12:13]
	v_mul_f64 v[12:13], v[12:13], s[12:13]
	v_and_or_b32 v1, v9, s15, v8
	v_lshrrev_b32_e32 v3, 8, v9
	v_bfe_u32 v6, v9, 20, 11
	v_lshrrev_b32_e32 v8, 16, v9
	v_and_or_b32 v9, v13, s15, v12
	v_cmp_ne_u32_e32 vcc, 0, v1
	v_cndmask_b32_e64 v1, 0, 1, vcc
	v_cmp_ne_u32_e32 vcc, 0, v9
	v_lshrrev_b32_e32 v12, 8, v13
	v_bfe_u32 v14, v13, 20, 11
	v_sub_u32_e32 v15, 0x3f1, v6
	v_cndmask_b32_e64 v9, 0, 1, vcc
	v_and_or_b32 v1, v3, s10, v1
	v_sub_u32_e32 v16, 0x3f1, v14
	v_med3_i32 v3, v15, 0, 13
	v_and_or_b32 v9, v12, s10, v9
	v_or_b32_e32 v15, 0x1000, v1
	v_add_u32_e32 v6, 0xfffffc10, v6
	v_med3_i32 v12, v16, 0, 13
	v_cmp_ne_u32_e32 vcc, 0, v1
	v_or_b32_e32 v17, 0x1000, v9
	v_lshrrev_b32_e32 v19, v3, v15
	v_add_u32_e32 v14, 0xfffffc10, v14
	v_lshl_or_b32 v16, v6, 12, v1
	v_cndmask_b32_e64 v1, 0, 1, vcc
	v_cmp_ne_u32_e32 vcc, 0, v9
	v_lshrrev_b32_e32 v20, v12, v17
	v_lshlrev_b32_e32 v3, v3, v19
	v_lshl_or_b32 v18, v14, 12, v9
	v_cndmask_b32_e64 v9, 0, 1, vcc
	v_lshlrev_b32_e32 v12, v12, v20
	v_cmp_ne_u32_e32 vcc, v3, v15
	v_cndmask_b32_e64 v3, 0, 1, vcc
	v_cmp_ne_u32_e32 vcc, v12, v17
	v_cndmask_b32_e64 v12, 0, 1, vcc
	v_or_b32_e32 v3, v19, v3
	v_cmp_gt_i32_e32 vcc, 1, v6
	v_cndmask_b32_e32 v3, v16, v3, vcc
	v_or_b32_e32 v12, v20, v12
	v_cmp_gt_i32_e32 vcc, 1, v14
	v_and_b32_e32 v15, 7, v3
	v_cndmask_b32_e32 v12, v18, v12, vcc
	v_cmp_lt_i32_e32 vcc, 5, v15
	v_cmp_eq_u32_e64 s[0:1], 3, v15
	v_lshrrev_b32_e32 v3, 2, v3
	v_and_b32_e32 v16, 7, v12
	s_or_b64 vcc, s[0:1], vcc
	v_cmp_lt_i32_e64 s[2:3], 5, v16
	v_cmp_eq_u32_e64 s[4:5], 3, v16
	v_addc_co_u32_e32 v3, vcc, 0, v3, vcc
	v_lshrrev_b32_e32 v12, 2, v12
	s_or_b64 vcc, s[4:5], s[2:3]
	v_addc_co_u32_e32 v12, vcc, 0, v12, vcc
	v_cmp_gt_i32_e32 vcc, 31, v6
	v_cndmask_b32_e32 v3, v2, v3, vcc
	v_cmp_gt_i32_e32 vcc, 31, v14
	v_lshl_or_b32 v1, v1, 9, v2
	v_cndmask_b32_e32 v12, v2, v12, vcc
	v_cmp_eq_u32_e32 vcc, s11, v6
	v_lshl_or_b32 v9, v9, 9, v2
	v_cndmask_b32_e32 v1, v3, v1, vcc
	v_cmp_eq_u32_e32 vcc, s11, v14
	v_lshrrev_b32_e32 v13, 16, v13
	v_cndmask_b32_e32 v3, v12, v9, vcc
	v_and_or_b32 v1, v8, s14, v1
	v_and_or_b32 v3, v13, s14, v3
	v_and_b32_e32 v1, 0xffff, v1
	v_lshl_or_b32 v1, v3, 16, v1
	global_store_dword v[10:11], v1, off
	global_load_dword v1, v[4:5], off offset:2172
	v_lshrrev_b32_e32 v3, 16, v7
	s_waitcnt vmcnt(0)
	v_mul_f16_sdwa v4, v3, v1 dst_sel:DWORD dst_unused:UNUSED_PAD src0_sel:DWORD src1_sel:WORD_1
	v_fma_f16 v4, v7, v1, v4
	v_mul_f16_sdwa v5, v7, v1 dst_sel:DWORD dst_unused:UNUSED_PAD src0_sel:DWORD src1_sel:WORD_1
	v_cvt_f32_f16_e32 v4, v4
	v_fma_f16 v1, v1, v3, -v5
	v_cvt_f32_f16_e32 v1, v1
	v_cvt_f64_f32_e32 v[3:4], v4
	v_cvt_f64_f32_e32 v[5:6], v1
	v_mul_f64 v[3:4], v[3:4], s[12:13]
	v_mul_f64 v[5:6], v[5:6], s[12:13]
	v_and_or_b32 v1, v4, s15, v3
	v_cmp_ne_u32_e32 vcc, 0, v1
	v_and_or_b32 v5, v6, s15, v5
	v_lshrrev_b32_e32 v3, 8, v4
	v_bfe_u32 v7, v4, 20, 11
	v_cndmask_b32_e64 v1, 0, 1, vcc
	v_cmp_ne_u32_e32 vcc, 0, v5
	v_lshrrev_b32_e32 v8, 8, v6
	v_bfe_u32 v9, v6, 20, 11
	v_sub_u32_e32 v12, 0x3f1, v7
	v_cndmask_b32_e64 v5, 0, 1, vcc
	v_and_or_b32 v1, v3, s10, v1
	v_sub_u32_e32 v13, 0x3f1, v9
	v_med3_i32 v3, v12, 0, 13
	v_and_or_b32 v5, v8, s10, v5
	v_or_b32_e32 v12, 0x1000, v1
	v_add_u32_e32 v7, 0xfffffc10, v7
	v_med3_i32 v8, v13, 0, 13
	v_cmp_ne_u32_e32 vcc, 0, v1
	v_or_b32_e32 v14, 0x1000, v5
	v_lshrrev_b32_e32 v16, v3, v12
	v_add_u32_e32 v9, 0xfffffc10, v9
	v_lshl_or_b32 v13, v7, 12, v1
	v_cndmask_b32_e64 v1, 0, 1, vcc
	v_cmp_ne_u32_e32 vcc, 0, v5
	v_lshrrev_b32_e32 v17, v8, v14
	v_lshlrev_b32_e32 v3, v3, v16
	v_lshl_or_b32 v15, v9, 12, v5
	v_cndmask_b32_e64 v5, 0, 1, vcc
	v_lshlrev_b32_e32 v8, v8, v17
	v_cmp_ne_u32_e32 vcc, v3, v12
	v_cndmask_b32_e64 v3, 0, 1, vcc
	v_cmp_ne_u32_e32 vcc, v8, v14
	v_cndmask_b32_e64 v8, 0, 1, vcc
	v_or_b32_e32 v3, v16, v3
	v_cmp_gt_i32_e32 vcc, 1, v7
	v_cndmask_b32_e32 v3, v13, v3, vcc
	v_or_b32_e32 v8, v17, v8
	v_cmp_gt_i32_e32 vcc, 1, v9
	v_and_b32_e32 v12, 7, v3
	v_cndmask_b32_e32 v8, v15, v8, vcc
	v_cmp_lt_i32_e32 vcc, 5, v12
	v_cmp_eq_u32_e64 s[0:1], 3, v12
	v_lshrrev_b32_e32 v3, 2, v3
	v_and_b32_e32 v13, 7, v8
	s_or_b64 vcc, s[0:1], vcc
	v_cmp_lt_i32_e64 s[2:3], 5, v13
	v_cmp_eq_u32_e64 s[4:5], 3, v13
	v_addc_co_u32_e32 v3, vcc, 0, v3, vcc
	v_lshrrev_b32_e32 v8, 2, v8
	s_or_b64 vcc, s[4:5], s[2:3]
	v_addc_co_u32_e32 v8, vcc, 0, v8, vcc
	v_cmp_gt_i32_e32 vcc, 31, v7
	v_cndmask_b32_e32 v3, v2, v3, vcc
	v_cmp_gt_i32_e32 vcc, 31, v9
	v_lshl_or_b32 v1, v1, 9, v2
	v_lshl_or_b32 v5, v5, 9, v2
	v_cndmask_b32_e32 v2, v2, v8, vcc
	v_cmp_eq_u32_e32 vcc, s11, v7
	v_lshrrev_b32_e32 v4, 16, v4
	v_cndmask_b32_e32 v1, v3, v1, vcc
	v_cmp_eq_u32_e32 vcc, s11, v9
	v_lshrrev_b32_e32 v6, 16, v6
	v_cndmask_b32_e32 v2, v2, v5, vcc
	v_and_or_b32 v1, v4, s14, v1
	v_and_or_b32 v2, v6, s14, v2
	v_and_b32_e32 v1, 0xffff, v1
	v_lshl_or_b32 v3, v2, 16, v1
	v_add_co_u32_e32 v1, vcc, s6, v10
	v_addc_co_u32_e32 v2, vcc, v11, v0, vcc
	global_store_dword v[1:2], v3, off
.LBB0_23:
	s_endpgm
	.section	.rodata,"a",@progbits
	.p2align	6, 0x0
	.amdhsa_kernel bluestein_single_fwd_len546_dim1_half_op_CI_CI
		.amdhsa_group_segment_fixed_size 6552
		.amdhsa_private_segment_fixed_size 0
		.amdhsa_kernarg_size 104
		.amdhsa_user_sgpr_count 6
		.amdhsa_user_sgpr_private_segment_buffer 1
		.amdhsa_user_sgpr_dispatch_ptr 0
		.amdhsa_user_sgpr_queue_ptr 0
		.amdhsa_user_sgpr_kernarg_segment_ptr 1
		.amdhsa_user_sgpr_dispatch_id 0
		.amdhsa_user_sgpr_flat_scratch_init 0
		.amdhsa_user_sgpr_private_segment_size 0
		.amdhsa_uses_dynamic_stack 0
		.amdhsa_system_sgpr_private_segment_wavefront_offset 0
		.amdhsa_system_sgpr_workgroup_id_x 1
		.amdhsa_system_sgpr_workgroup_id_y 0
		.amdhsa_system_sgpr_workgroup_id_z 0
		.amdhsa_system_sgpr_workgroup_info 0
		.amdhsa_system_vgpr_workitem_id 0
		.amdhsa_next_free_vgpr 164
		.amdhsa_next_free_sgpr 37
		.amdhsa_reserve_vcc 1
		.amdhsa_reserve_flat_scratch 0
		.amdhsa_float_round_mode_32 0
		.amdhsa_float_round_mode_16_64 0
		.amdhsa_float_denorm_mode_32 3
		.amdhsa_float_denorm_mode_16_64 3
		.amdhsa_dx10_clamp 1
		.amdhsa_ieee_mode 1
		.amdhsa_fp16_overflow 0
		.amdhsa_exception_fp_ieee_invalid_op 0
		.amdhsa_exception_fp_denorm_src 0
		.amdhsa_exception_fp_ieee_div_zero 0
		.amdhsa_exception_fp_ieee_overflow 0
		.amdhsa_exception_fp_ieee_underflow 0
		.amdhsa_exception_fp_ieee_inexact 0
		.amdhsa_exception_int_div_zero 0
	.end_amdhsa_kernel
	.text
.Lfunc_end0:
	.size	bluestein_single_fwd_len546_dim1_half_op_CI_CI, .Lfunc_end0-bluestein_single_fwd_len546_dim1_half_op_CI_CI
                                        ; -- End function
	.section	.AMDGPU.csdata,"",@progbits
; Kernel info:
; codeLenInByte = 37660
; NumSgprs: 41
; NumVgprs: 164
; ScratchSize: 0
; MemoryBound: 0
; FloatMode: 240
; IeeeMode: 1
; LDSByteSize: 6552 bytes/workgroup (compile time only)
; SGPRBlocks: 5
; VGPRBlocks: 40
; NumSGPRsForWavesPerEU: 41
; NumVGPRsForWavesPerEU: 164
; Occupancy: 1
; WaveLimiterHint : 1
; COMPUTE_PGM_RSRC2:SCRATCH_EN: 0
; COMPUTE_PGM_RSRC2:USER_SGPR: 6
; COMPUTE_PGM_RSRC2:TRAP_HANDLER: 0
; COMPUTE_PGM_RSRC2:TGID_X_EN: 1
; COMPUTE_PGM_RSRC2:TGID_Y_EN: 0
; COMPUTE_PGM_RSRC2:TGID_Z_EN: 0
; COMPUTE_PGM_RSRC2:TIDIG_COMP_CNT: 0
	.type	__hip_cuid_20e1fd987ac8e1d,@object ; @__hip_cuid_20e1fd987ac8e1d
	.section	.bss,"aw",@nobits
	.globl	__hip_cuid_20e1fd987ac8e1d
__hip_cuid_20e1fd987ac8e1d:
	.byte	0                               ; 0x0
	.size	__hip_cuid_20e1fd987ac8e1d, 1

	.ident	"AMD clang version 19.0.0git (https://github.com/RadeonOpenCompute/llvm-project roc-6.4.0 25133 c7fe45cf4b819c5991fe208aaa96edf142730f1d)"
	.section	".note.GNU-stack","",@progbits
	.addrsig
	.addrsig_sym __hip_cuid_20e1fd987ac8e1d
	.amdgpu_metadata
---
amdhsa.kernels:
  - .args:
      - .actual_access:  read_only
        .address_space:  global
        .offset:         0
        .size:           8
        .value_kind:     global_buffer
      - .actual_access:  read_only
        .address_space:  global
        .offset:         8
        .size:           8
        .value_kind:     global_buffer
      - .actual_access:  read_only
        .address_space:  global
        .offset:         16
        .size:           8
        .value_kind:     global_buffer
      - .actual_access:  read_only
        .address_space:  global
        .offset:         24
        .size:           8
        .value_kind:     global_buffer
      - .actual_access:  read_only
        .address_space:  global
        .offset:         32
        .size:           8
        .value_kind:     global_buffer
      - .offset:         40
        .size:           8
        .value_kind:     by_value
      - .address_space:  global
        .offset:         48
        .size:           8
        .value_kind:     global_buffer
      - .address_space:  global
        .offset:         56
        .size:           8
        .value_kind:     global_buffer
      - .address_space:  global
        .offset:         64
        .size:           8
        .value_kind:     global_buffer
      - .address_space:  global
        .offset:         72
        .size:           8
        .value_kind:     global_buffer
      - .offset:         80
        .size:           4
        .value_kind:     by_value
      - .address_space:  global
        .offset:         88
        .size:           8
        .value_kind:     global_buffer
      - .address_space:  global
        .offset:         96
        .size:           8
        .value_kind:     global_buffer
    .group_segment_fixed_size: 6552
    .kernarg_segment_align: 8
    .kernarg_segment_size: 104
    .language:       OpenCL C
    .language_version:
      - 2
      - 0
    .max_flat_workgroup_size: 117
    .name:           bluestein_single_fwd_len546_dim1_half_op_CI_CI
    .private_segment_fixed_size: 0
    .sgpr_count:     41
    .sgpr_spill_count: 0
    .symbol:         bluestein_single_fwd_len546_dim1_half_op_CI_CI.kd
    .uniform_work_group_size: 1
    .uses_dynamic_stack: false
    .vgpr_count:     164
    .vgpr_spill_count: 0
    .wavefront_size: 64
amdhsa.target:   amdgcn-amd-amdhsa--gfx906
amdhsa.version:
  - 1
  - 2
...

	.end_amdgpu_metadata
